;; amdgpu-corpus repo=ROCm/rocFFT kind=compiled arch=gfx1201 opt=O3
	.text
	.amdgcn_target "amdgcn-amd-amdhsa--gfx1201"
	.amdhsa_code_object_version 6
	.protected	fft_rtc_fwd_len1300_factors_10_10_13_wgs_130_tpt_130_dp_op_CI_CI_sbrr_dirReg ; -- Begin function fft_rtc_fwd_len1300_factors_10_10_13_wgs_130_tpt_130_dp_op_CI_CI_sbrr_dirReg
	.globl	fft_rtc_fwd_len1300_factors_10_10_13_wgs_130_tpt_130_dp_op_CI_CI_sbrr_dirReg
	.p2align	8
	.type	fft_rtc_fwd_len1300_factors_10_10_13_wgs_130_tpt_130_dp_op_CI_CI_sbrr_dirReg,@function
fft_rtc_fwd_len1300_factors_10_10_13_wgs_130_tpt_130_dp_op_CI_CI_sbrr_dirReg: ; @fft_rtc_fwd_len1300_factors_10_10_13_wgs_130_tpt_130_dp_op_CI_CI_sbrr_dirReg
; %bb.0:
	s_clause 0x2
	s_load_b128 s[12:15], s[0:1], 0x18
	s_load_b128 s[8:11], s[0:1], 0x0
	;; [unrolled: 1-line block ×3, first 2 shown]
	v_mul_u32_u24_e32 v1, 0x1f9, v0
	v_mov_b32_e32 v4, 0
	v_mov_b32_e32 v5, 0
	s_wait_kmcnt 0x0
	s_load_b64 s[18:19], s[12:13], 0x0
	s_load_b64 s[16:17], s[14:15], 0x0
	v_lshrrev_b32_e32 v2, 16, v1
	v_mov_b32_e32 v1, 0
	v_cmp_lt_u64_e64 s2, s[10:11], 2
	s_delay_alu instid0(VALU_DEP_2) | instskip(NEXT) | instid1(VALU_DEP_2)
	v_dual_mov_b32 v7, v1 :: v_dual_add_nc_u32 v6, ttmp9, v2
	s_and_b32 vcc_lo, exec_lo, s2
	s_cbranch_vccnz .LBB0_8
; %bb.1:
	s_load_b64 s[2:3], s[0:1], 0x10
	v_mov_b32_e32 v4, 0
	v_mov_b32_e32 v5, 0
	s_add_nc_u64 s[20:21], s[14:15], 8
	s_add_nc_u64 s[22:23], s[12:13], 8
	s_mov_b64 s[24:25], 1
	s_delay_alu instid0(VALU_DEP_1)
	v_dual_mov_b32 v61, v5 :: v_dual_mov_b32 v60, v4
	s_wait_kmcnt 0x0
	s_add_nc_u64 s[26:27], s[2:3], 8
	s_mov_b32 s3, 0
.LBB0_2:                                ; =>This Inner Loop Header: Depth=1
	s_load_b64 s[28:29], s[26:27], 0x0
                                        ; implicit-def: $vgpr62_vgpr63
	s_mov_b32 s2, exec_lo
	s_wait_kmcnt 0x0
	v_or_b32_e32 v2, s29, v7
	s_delay_alu instid0(VALU_DEP_1)
	v_cmpx_ne_u64_e32 0, v[1:2]
	s_wait_alu 0xfffe
	s_xor_b32 s30, exec_lo, s2
	s_cbranch_execz .LBB0_4
; %bb.3:                                ;   in Loop: Header=BB0_2 Depth=1
	s_cvt_f32_u32 s2, s28
	s_cvt_f32_u32 s31, s29
	s_sub_nc_u64 s[36:37], 0, s[28:29]
	s_wait_alu 0xfffe
	s_delay_alu instid0(SALU_CYCLE_1) | instskip(SKIP_1) | instid1(SALU_CYCLE_2)
	s_fmamk_f32 s2, s31, 0x4f800000, s2
	s_wait_alu 0xfffe
	v_s_rcp_f32 s2, s2
	s_delay_alu instid0(TRANS32_DEP_1) | instskip(SKIP_1) | instid1(SALU_CYCLE_2)
	s_mul_f32 s2, s2, 0x5f7ffffc
	s_wait_alu 0xfffe
	s_mul_f32 s31, s2, 0x2f800000
	s_wait_alu 0xfffe
	s_delay_alu instid0(SALU_CYCLE_2) | instskip(SKIP_1) | instid1(SALU_CYCLE_2)
	s_trunc_f32 s31, s31
	s_wait_alu 0xfffe
	s_fmamk_f32 s2, s31, 0xcf800000, s2
	s_cvt_u32_f32 s35, s31
	s_wait_alu 0xfffe
	s_delay_alu instid0(SALU_CYCLE_1) | instskip(SKIP_1) | instid1(SALU_CYCLE_2)
	s_cvt_u32_f32 s34, s2
	s_wait_alu 0xfffe
	s_mul_u64 s[38:39], s[36:37], s[34:35]
	s_wait_alu 0xfffe
	s_mul_hi_u32 s41, s34, s39
	s_mul_i32 s40, s34, s39
	s_mul_hi_u32 s2, s34, s38
	s_mul_i32 s33, s35, s38
	s_wait_alu 0xfffe
	s_add_nc_u64 s[40:41], s[2:3], s[40:41]
	s_mul_hi_u32 s31, s35, s38
	s_mul_hi_u32 s42, s35, s39
	s_add_co_u32 s2, s40, s33
	s_wait_alu 0xfffe
	s_add_co_ci_u32 s2, s41, s31
	s_mul_i32 s38, s35, s39
	s_add_co_ci_u32 s39, s42, 0
	s_wait_alu 0xfffe
	s_add_nc_u64 s[38:39], s[2:3], s[38:39]
	s_wait_alu 0xfffe
	v_add_co_u32 v2, s2, s34, s38
	s_delay_alu instid0(VALU_DEP_1) | instskip(SKIP_1) | instid1(VALU_DEP_1)
	s_cmp_lg_u32 s2, 0
	s_add_co_ci_u32 s35, s35, s39
	v_readfirstlane_b32 s34, v2
	s_wait_alu 0xfffe
	s_delay_alu instid0(VALU_DEP_1)
	s_mul_u64 s[36:37], s[36:37], s[34:35]
	s_wait_alu 0xfffe
	s_mul_hi_u32 s39, s34, s37
	s_mul_i32 s38, s34, s37
	s_mul_hi_u32 s2, s34, s36
	s_mul_i32 s33, s35, s36
	s_wait_alu 0xfffe
	s_add_nc_u64 s[38:39], s[2:3], s[38:39]
	s_mul_hi_u32 s31, s35, s36
	s_mul_hi_u32 s34, s35, s37
	s_wait_alu 0xfffe
	s_add_co_u32 s2, s38, s33
	s_add_co_ci_u32 s2, s39, s31
	s_mul_i32 s36, s35, s37
	s_add_co_ci_u32 s37, s34, 0
	s_wait_alu 0xfffe
	s_add_nc_u64 s[36:37], s[2:3], s[36:37]
	s_wait_alu 0xfffe
	v_add_co_u32 v8, s2, v2, s36
	s_delay_alu instid0(VALU_DEP_1) | instskip(SKIP_1) | instid1(VALU_DEP_1)
	s_cmp_lg_u32 s2, 0
	s_add_co_ci_u32 s2, s35, s37
	v_mul_hi_u32 v12, v6, v8
	s_wait_alu 0xfffe
	v_mad_co_u64_u32 v[2:3], null, v6, s2, 0
	v_mad_co_u64_u32 v[8:9], null, v7, v8, 0
	;; [unrolled: 1-line block ×3, first 2 shown]
	s_delay_alu instid0(VALU_DEP_3) | instskip(SKIP_1) | instid1(VALU_DEP_4)
	v_add_co_u32 v2, vcc_lo, v12, v2
	s_wait_alu 0xfffd
	v_add_co_ci_u32_e32 v3, vcc_lo, 0, v3, vcc_lo
	s_delay_alu instid0(VALU_DEP_2) | instskip(SKIP_1) | instid1(VALU_DEP_2)
	v_add_co_u32 v2, vcc_lo, v2, v8
	s_wait_alu 0xfffd
	v_add_co_ci_u32_e32 v2, vcc_lo, v3, v9, vcc_lo
	s_wait_alu 0xfffd
	v_add_co_ci_u32_e32 v3, vcc_lo, 0, v11, vcc_lo
	s_delay_alu instid0(VALU_DEP_2) | instskip(SKIP_1) | instid1(VALU_DEP_2)
	v_add_co_u32 v8, vcc_lo, v2, v10
	s_wait_alu 0xfffd
	v_add_co_ci_u32_e32 v9, vcc_lo, 0, v3, vcc_lo
	s_delay_alu instid0(VALU_DEP_2) | instskip(SKIP_1) | instid1(VALU_DEP_3)
	v_mul_lo_u32 v10, s29, v8
	v_mad_co_u64_u32 v[2:3], null, s28, v8, 0
	v_mul_lo_u32 v11, s28, v9
	s_delay_alu instid0(VALU_DEP_2) | instskip(NEXT) | instid1(VALU_DEP_2)
	v_sub_co_u32 v2, vcc_lo, v6, v2
	v_add3_u32 v3, v3, v11, v10
	s_delay_alu instid0(VALU_DEP_1) | instskip(SKIP_1) | instid1(VALU_DEP_1)
	v_sub_nc_u32_e32 v10, v7, v3
	s_wait_alu 0xfffd
	v_subrev_co_ci_u32_e64 v10, s2, s29, v10, vcc_lo
	v_add_co_u32 v11, s2, v8, 2
	s_wait_alu 0xf1ff
	v_add_co_ci_u32_e64 v12, s2, 0, v9, s2
	v_sub_co_u32 v13, s2, v2, s28
	v_sub_co_ci_u32_e32 v3, vcc_lo, v7, v3, vcc_lo
	s_wait_alu 0xf1ff
	v_subrev_co_ci_u32_e64 v10, s2, 0, v10, s2
	s_delay_alu instid0(VALU_DEP_3) | instskip(NEXT) | instid1(VALU_DEP_3)
	v_cmp_le_u32_e32 vcc_lo, s28, v13
	v_cmp_eq_u32_e64 s2, s29, v3
	s_wait_alu 0xfffd
	v_cndmask_b32_e64 v13, 0, -1, vcc_lo
	v_cmp_le_u32_e32 vcc_lo, s29, v10
	s_wait_alu 0xfffd
	v_cndmask_b32_e64 v14, 0, -1, vcc_lo
	v_cmp_le_u32_e32 vcc_lo, s28, v2
	;; [unrolled: 3-line block ×3, first 2 shown]
	s_wait_alu 0xfffd
	v_cndmask_b32_e64 v15, 0, -1, vcc_lo
	v_cmp_eq_u32_e32 vcc_lo, s29, v10
	s_wait_alu 0xf1ff
	s_delay_alu instid0(VALU_DEP_2)
	v_cndmask_b32_e64 v2, v15, v2, s2
	s_wait_alu 0xfffd
	v_cndmask_b32_e32 v10, v14, v13, vcc_lo
	v_add_co_u32 v13, vcc_lo, v8, 1
	s_wait_alu 0xfffd
	v_add_co_ci_u32_e32 v14, vcc_lo, 0, v9, vcc_lo
	s_delay_alu instid0(VALU_DEP_3) | instskip(SKIP_1) | instid1(VALU_DEP_2)
	v_cmp_ne_u32_e32 vcc_lo, 0, v10
	s_wait_alu 0xfffd
	v_dual_cndmask_b32 v3, v14, v12 :: v_dual_cndmask_b32 v10, v13, v11
	v_cmp_ne_u32_e32 vcc_lo, 0, v2
	s_wait_alu 0xfffd
	s_delay_alu instid0(VALU_DEP_2)
	v_dual_cndmask_b32 v63, v9, v3 :: v_dual_cndmask_b32 v62, v8, v10
.LBB0_4:                                ;   in Loop: Header=BB0_2 Depth=1
	s_wait_alu 0xfffe
	s_and_not1_saveexec_b32 s2, s30
	s_cbranch_execz .LBB0_6
; %bb.5:                                ;   in Loop: Header=BB0_2 Depth=1
	v_cvt_f32_u32_e32 v2, s28
	s_sub_co_i32 s30, 0, s28
	v_mov_b32_e32 v63, v1
	s_delay_alu instid0(VALU_DEP_2) | instskip(NEXT) | instid1(TRANS32_DEP_1)
	v_rcp_iflag_f32_e32 v2, v2
	v_mul_f32_e32 v2, 0x4f7ffffe, v2
	s_delay_alu instid0(VALU_DEP_1) | instskip(SKIP_1) | instid1(VALU_DEP_1)
	v_cvt_u32_f32_e32 v2, v2
	s_wait_alu 0xfffe
	v_mul_lo_u32 v3, s30, v2
	s_delay_alu instid0(VALU_DEP_1) | instskip(NEXT) | instid1(VALU_DEP_1)
	v_mul_hi_u32 v3, v2, v3
	v_add_nc_u32_e32 v2, v2, v3
	s_delay_alu instid0(VALU_DEP_1) | instskip(NEXT) | instid1(VALU_DEP_1)
	v_mul_hi_u32 v2, v6, v2
	v_mul_lo_u32 v3, v2, s28
	v_add_nc_u32_e32 v8, 1, v2
	s_delay_alu instid0(VALU_DEP_2) | instskip(NEXT) | instid1(VALU_DEP_1)
	v_sub_nc_u32_e32 v3, v6, v3
	v_subrev_nc_u32_e32 v9, s28, v3
	v_cmp_le_u32_e32 vcc_lo, s28, v3
	s_wait_alu 0xfffd
	s_delay_alu instid0(VALU_DEP_2) | instskip(NEXT) | instid1(VALU_DEP_1)
	v_dual_cndmask_b32 v3, v3, v9 :: v_dual_cndmask_b32 v2, v2, v8
	v_cmp_le_u32_e32 vcc_lo, s28, v3
	s_delay_alu instid0(VALU_DEP_2) | instskip(SKIP_1) | instid1(VALU_DEP_1)
	v_add_nc_u32_e32 v8, 1, v2
	s_wait_alu 0xfffd
	v_cndmask_b32_e32 v62, v2, v8, vcc_lo
.LBB0_6:                                ;   in Loop: Header=BB0_2 Depth=1
	s_wait_alu 0xfffe
	s_or_b32 exec_lo, exec_lo, s2
	v_mul_lo_u32 v8, v63, s28
	s_delay_alu instid0(VALU_DEP_2)
	v_mul_lo_u32 v9, v62, s29
	s_load_b64 s[30:31], s[22:23], 0x0
	v_mad_co_u64_u32 v[2:3], null, v62, s28, 0
	s_load_b64 s[28:29], s[20:21], 0x0
	s_add_nc_u64 s[24:25], s[24:25], 1
	s_add_nc_u64 s[20:21], s[20:21], 8
	s_wait_alu 0xfffe
	v_cmp_ge_u64_e64 s2, s[24:25], s[10:11]
	s_add_nc_u64 s[22:23], s[22:23], 8
	s_add_nc_u64 s[26:27], s[26:27], 8
	v_add3_u32 v3, v3, v9, v8
	v_sub_co_u32 v2, vcc_lo, v6, v2
	s_wait_alu 0xfffd
	s_delay_alu instid0(VALU_DEP_2) | instskip(SKIP_2) | instid1(VALU_DEP_1)
	v_sub_co_ci_u32_e32 v3, vcc_lo, v7, v3, vcc_lo
	s_and_b32 vcc_lo, exec_lo, s2
	s_wait_kmcnt 0x0
	v_mul_lo_u32 v6, s30, v3
	v_mul_lo_u32 v7, s31, v2
	v_mad_co_u64_u32 v[4:5], null, s30, v2, v[4:5]
	v_mul_lo_u32 v3, s28, v3
	v_mul_lo_u32 v8, s29, v2
	v_mad_co_u64_u32 v[60:61], null, s28, v2, v[60:61]
	s_delay_alu instid0(VALU_DEP_4) | instskip(NEXT) | instid1(VALU_DEP_2)
	v_add3_u32 v5, v7, v5, v6
	v_add3_u32 v61, v8, v61, v3
	s_wait_alu 0xfffe
	s_cbranch_vccnz .LBB0_9
; %bb.7:                                ;   in Loop: Header=BB0_2 Depth=1
	v_dual_mov_b32 v6, v62 :: v_dual_mov_b32 v7, v63
	s_branch .LBB0_2
.LBB0_8:
	v_dual_mov_b32 v61, v5 :: v_dual_mov_b32 v60, v4
	s_delay_alu instid0(VALU_DEP_2)
	v_dual_mov_b32 v63, v7 :: v_dual_mov_b32 v62, v6
.LBB0_9:
	s_load_b64 s[0:1], s[0:1], 0x28
	v_mul_hi_u32 v1, 0x1f81f82, v0
	s_lshl_b64 s[10:11], s[10:11], 3
                                        ; implicit-def: $vgpr68
	s_wait_kmcnt 0x0
	v_cmp_gt_u64_e32 vcc_lo, s[0:1], v[62:63]
	v_cmp_le_u64_e64 s0, s[0:1], v[62:63]
	s_delay_alu instid0(VALU_DEP_1)
	s_and_saveexec_b32 s1, s0
	s_wait_alu 0xfffe
	s_xor_b32 s0, exec_lo, s1
; %bb.10:
	v_mul_u32_u24_e32 v1, 0x82, v1
                                        ; implicit-def: $vgpr4_vgpr5
	s_delay_alu instid0(VALU_DEP_1)
	v_sub_nc_u32_e32 v68, v0, v1
                                        ; implicit-def: $vgpr1
                                        ; implicit-def: $vgpr0
; %bb.11:
	s_wait_alu 0xfffe
	s_or_saveexec_b32 s1, s0
	s_add_nc_u64 s[2:3], s[14:15], s[10:11]
                                        ; implicit-def: $vgpr14_vgpr15
                                        ; implicit-def: $vgpr10_vgpr11
                                        ; implicit-def: $vgpr22_vgpr23
                                        ; implicit-def: $vgpr26_vgpr27
                                        ; implicit-def: $vgpr34_vgpr35
                                        ; implicit-def: $vgpr38_vgpr39
                                        ; implicit-def: $vgpr30_vgpr31
                                        ; implicit-def: $vgpr18_vgpr19
                                        ; implicit-def: $vgpr6_vgpr7
                                        ; implicit-def: $vgpr2_vgpr3
	s_wait_alu 0xfffe
	s_xor_b32 exec_lo, exec_lo, s1
	s_cbranch_execz .LBB0_13
; %bb.12:
	v_mul_u32_u24_e32 v1, 0x82, v1
	s_add_nc_u64 s[10:11], s[12:13], s[10:11]
	v_lshlrev_b64_e32 v[4:5], 4, v[4:5]
	s_load_b64 s[10:11], s[10:11], 0x0
	s_delay_alu instid0(VALU_DEP_2) | instskip(NEXT) | instid1(VALU_DEP_1)
	v_sub_nc_u32_e32 v68, v0, v1
	v_add_nc_u32_e32 v14, 0x82, v68
	v_mad_co_u64_u32 v[0:1], null, s18, v68, 0
	v_add_nc_u32_e32 v19, 0x208, v68
	v_add_nc_u32_e32 v27, 0x38e, v68
	s_delay_alu instid0(VALU_DEP_4) | instskip(SKIP_2) | instid1(VALU_DEP_2)
	v_mad_co_u64_u32 v[2:3], null, s18, v14, 0
	v_add_nc_u32_e32 v26, 0x30c, v68
	v_add_nc_u32_e32 v36, 0x492, v68
	v_mad_co_u64_u32 v[22:23], null, s18, v26, 0
	s_delay_alu instid0(VALU_DEP_4)
	v_mad_co_u64_u32 v[12:13], null, s19, v68, v[1:2]
	v_mov_b32_e32 v1, v3
	v_add_nc_u32_e32 v15, 0x104, v68
	s_wait_kmcnt 0x0
	v_mul_lo_u32 v17, s11, v62
	v_mul_lo_u32 v18, s10, v63
	v_mad_co_u64_u32 v[10:11], null, s10, v62, 0
	v_mad_co_u64_u32 v[13:14], null, s19, v14, v[1:2]
	v_mov_b32_e32 v1, v12
	v_mad_co_u64_u32 v[6:7], null, s18, v15, 0
	v_add_nc_u32_e32 v16, 0x186, v68
	v_add3_u32 v11, v11, v18, v17
	s_delay_alu instid0(VALU_DEP_4) | instskip(SKIP_3) | instid1(VALU_DEP_2)
	v_lshlrev_b64_e32 v[0:1], 4, v[0:1]
	v_mad_co_u64_u32 v[32:33], null, s18, v36, 0
	v_mov_b32_e32 v3, v7
	v_mad_co_u64_u32 v[8:9], null, s18, v16, 0
	v_mad_co_u64_u32 v[14:15], null, s19, v15, v[3:4]
	v_mov_b32_e32 v3, v13
	s_delay_alu instid0(VALU_DEP_3) | instskip(SKIP_1) | instid1(VALU_DEP_3)
	v_mov_b32_e32 v7, v9
	v_lshlrev_b64_e32 v[9:10], 4, v[10:11]
	v_lshlrev_b64_e32 v[2:3], 4, v[2:3]
	s_delay_alu instid0(VALU_DEP_3) | instskip(SKIP_1) | instid1(VALU_DEP_4)
	v_mad_co_u64_u32 v[11:12], null, s19, v16, v[7:8]
	v_add_nc_u32_e32 v16, 0x28a, v68
	v_add_co_u32 v9, s0, s4, v9
	s_wait_alu 0xf1ff
	v_add_co_ci_u32_e64 v10, s0, s5, v10, s0
	v_mov_b32_e32 v7, v14
	v_mad_co_u64_u32 v[14:15], null, s18, v19, 0
	v_mad_co_u64_u32 v[20:21], null, s18, v16, 0
	v_add_co_u32 v34, s0, v9, v4
	s_wait_alu 0xf1ff
	v_add_co_ci_u32_e64 v35, s0, v10, v5, s0
	v_lshlrev_b64_e32 v[12:13], 4, v[6:7]
	s_delay_alu instid0(VALU_DEP_3) | instskip(SKIP_1) | instid1(VALU_DEP_3)
	v_add_co_u32 v0, s0, v34, v0
	s_wait_alu 0xf1ff
	v_add_co_ci_u32_e64 v1, s0, v35, v1, s0
	v_add_co_u32 v4, s0, v34, v2
	s_wait_alu 0xf1ff
	v_add_co_ci_u32_e64 v5, s0, v35, v3, s0
	v_add_co_u32 v10, s0, v34, v12
	v_dual_mov_b32 v12, v15 :: v_dual_mov_b32 v9, v11
	s_wait_alu 0xf1ff
	v_add_co_ci_u32_e64 v11, s0, v35, v13, s0
	s_clause 0x1
	global_load_b128 v[0:3], v[0:1], off
	global_load_b128 v[4:7], v[4:5], off
	v_mad_co_u64_u32 v[12:13], null, s19, v19, v[12:13]
	v_lshlrev_b64_e32 v[8:9], 4, v[8:9]
	v_mov_b32_e32 v13, v21
	s_delay_alu instid0(VALU_DEP_2) | instskip(NEXT) | instid1(VALU_DEP_4)
	v_add_co_u32 v8, s0, v34, v8
	v_mov_b32_e32 v15, v12
	s_wait_alu 0xf1ff
	s_delay_alu instid0(VALU_DEP_4)
	v_add_co_ci_u32_e64 v9, s0, v35, v9, s0
	v_mad_co_u64_u32 v[24:25], null, s19, v16, v[13:14]
	v_mad_co_u64_u32 v[12:13], null, s18, v27, 0
	s_clause 0x1
	global_load_b128 v[16:19], v[10:11], off
	global_load_b128 v[28:31], v[8:9], off
	v_lshlrev_b64_e32 v[9:10], 4, v[14:15]
	v_dual_mov_b32 v8, v23 :: v_dual_add_nc_u32 v11, 0x410, v68
	v_mov_b32_e32 v21, v24
	s_delay_alu instid0(VALU_DEP_2) | instskip(NEXT) | instid1(VALU_DEP_3)
	v_mad_co_u64_u32 v[24:25], null, s18, v11, 0
	v_mad_co_u64_u32 v[14:15], null, s19, v26, v[8:9]
	v_mov_b32_e32 v8, v13
	s_delay_alu instid0(VALU_DEP_4) | instskip(NEXT) | instid1(VALU_DEP_2)
	v_lshlrev_b64_e32 v[20:21], 4, v[20:21]
	v_mad_co_u64_u32 v[26:27], null, s19, v27, v[8:9]
	v_add_co_u32 v8, s0, v34, v9
	s_wait_alu 0xf1ff
	v_add_co_ci_u32_e64 v9, s0, v35, v10, s0
	v_dual_mov_b32 v10, v25 :: v_dual_mov_b32 v23, v14
	v_add_co_u32 v14, s0, v34, v20
	v_mov_b32_e32 v13, v26
	s_delay_alu instid0(VALU_DEP_3) | instskip(SKIP_4) | instid1(VALU_DEP_3)
	v_mad_co_u64_u32 v[10:11], null, s19, v11, v[10:11]
	v_mov_b32_e32 v11, v33
	s_wait_alu 0xf1ff
	v_add_co_ci_u32_e64 v15, s0, v35, v21, s0
	v_lshlrev_b64_e32 v[20:21], 4, v[22:23]
	v_mad_co_u64_u32 v[22:23], null, s19, v36, v[11:12]
	v_lshlrev_b64_e32 v[11:12], 4, v[12:13]
	v_mov_b32_e32 v25, v10
	s_delay_alu instid0(VALU_DEP_4)
	v_add_co_u32 v20, s0, v34, v20
	s_wait_alu 0xf1ff
	v_add_co_ci_u32_e64 v21, s0, v35, v21, s0
	v_mov_b32_e32 v33, v22
	v_lshlrev_b64_e32 v[23:24], 4, v[24:25]
	v_add_co_u32 v10, s0, v34, v11
	s_wait_alu 0xf1ff
	v_add_co_ci_u32_e64 v11, s0, v35, v12, s0
	v_lshlrev_b64_e32 v[12:13], 4, v[32:33]
	s_delay_alu instid0(VALU_DEP_4) | instskip(SKIP_2) | instid1(VALU_DEP_3)
	v_add_co_u32 v40, s0, v34, v23
	s_wait_alu 0xf1ff
	v_add_co_ci_u32_e64 v41, s0, v35, v24, s0
	v_add_co_u32 v12, s0, v34, v12
	s_wait_alu 0xf1ff
	v_add_co_ci_u32_e64 v13, s0, v35, v13, s0
	s_clause 0x5
	global_load_b128 v[36:39], v[8:9], off
	global_load_b128 v[32:35], v[14:15], off
	;; [unrolled: 1-line block ×6, first 2 shown]
.LBB0_13:
	s_or_b32 exec_lo, exec_lo, s1
	s_wait_loadcnt 0x2
	v_add_f64_e32 v[40:41], v[20:21], v[32:33]
	s_wait_loadcnt 0x0
	v_add_f64_e32 v[42:43], v[12:13], v[28:29]
	v_add_f64_e32 v[44:45], v[14:15], v[30:31]
	;; [unrolled: 1-line block ×3, first 2 shown]
	v_add_f64_e64 v[48:49], v[30:31], -v[14:15]
	v_add_f64_e64 v[50:51], v[34:35], -v[22:23]
	;; [unrolled: 1-line block ×4, first 2 shown]
	s_mov_b32 s4, 0x134454ff
	s_mov_b32 s5, 0x3fee6f0e
	s_mov_b32 s1, 0xbfee6f0e
	s_wait_alu 0xfffe
	s_mov_b32 s0, s4
	v_add_f64_e32 v[56:57], v[24:25], v[36:37]
	v_add_f64_e32 v[58:59], v[8:9], v[16:17]
	;; [unrolled: 1-line block ×4, first 2 shown]
	v_add_f64_e64 v[69:70], v[28:29], -v[32:33]
	v_add_f64_e64 v[71:72], v[12:13], -v[20:21]
	;; [unrolled: 1-line block ×8, first 2 shown]
	s_mov_b32 s10, 0x4755a5e
	s_mov_b32 s11, 0x3fe2cf23
	;; [unrolled: 1-line block ×3, first 2 shown]
	s_wait_alu 0xfffe
	s_mov_b32 s12, s10
	v_add_f64_e32 v[93:94], v[18:19], v[2:3]
	v_add_f64_e64 v[95:96], v[38:39], -v[26:27]
	v_add_f64_e64 v[97:98], v[16:17], -v[8:9]
	;; [unrolled: 1-line block ×3, first 2 shown]
	s_mov_b32 s14, 0x372fe950
	s_mov_b32 s15, 0x3fd3c6ef
	;; [unrolled: 1-line block ×4, first 2 shown]
	s_load_b64 s[2:3], s[2:3], 0x0
	v_fma_f64 v[40:41], v[40:41], -0.5, v[4:5]
	v_fma_f64 v[42:43], v[42:43], -0.5, v[4:5]
	;; [unrolled: 1-line block ×4, first 2 shown]
	v_add_f64_e32 v[4:5], v[28:29], v[4:5]
	v_add_f64_e32 v[6:7], v[30:31], v[6:7]
	;; [unrolled: 1-line block ×3, first 2 shown]
	v_add_f64_e64 v[30:31], v[18:19], -v[10:11]
	v_fma_f64 v[56:57], v[56:57], -0.5, v[0:1]
	v_fma_f64 v[0:1], v[58:59], -0.5, v[0:1]
	;; [unrolled: 1-line block ×4, first 2 shown]
	v_add_f64_e32 v[64:65], v[71:72], v[69:70]
	v_add_f64_e32 v[66:67], v[75:76], v[73:74]
	v_fma_f64 v[81:82], v[48:49], s[4:5], v[40:41]
	v_fma_f64 v[83:84], v[50:51], s[0:1], v[42:43]
	;; [unrolled: 1-line block ×8, first 2 shown]
	v_add_f64_e32 v[28:29], v[36:37], v[28:29]
	v_add_f64_e32 v[4:5], v[32:33], v[4:5]
	;; [unrolled: 1-line block ×3, first 2 shown]
	v_fma_f64 v[32:33], v[30:31], s[4:5], v[56:57]
	v_fma_f64 v[34:35], v[30:31], s[0:1], v[56:57]
	;; [unrolled: 1-line block ×8, first 2 shown]
	v_add_f64_e32 v[50:51], v[87:88], v[85:86]
	v_fma_f64 v[73:74], v[52:53], s[10:11], v[89:90]
	v_add_f64_e32 v[48:49], v[79:80], v[77:78]
	v_fma_f64 v[75:76], v[54:55], s[10:11], v[91:92]
	v_add_f64_e64 v[77:78], v[16:17], -v[36:37]
	v_add_f64_e64 v[16:17], v[36:37], -v[16:17]
	v_add_f64_e32 v[36:37], v[38:39], v[93:94]
	v_add_f64_e64 v[79:80], v[8:9], -v[24:25]
	v_add_f64_e64 v[83:84], v[18:19], -v[38:39]
	;; [unrolled: 1-line block ×4, first 2 shown]
	v_fma_f64 v[38:39], v[95:96], s[0:1], v[0:1]
	v_fma_f64 v[0:1], v[95:96], s[4:5], v[0:1]
	;; [unrolled: 1-line block ×4, first 2 shown]
	v_add_f64_e64 v[81:82], v[24:25], -v[8:9]
	v_add_f64_e64 v[87:88], v[26:27], -v[10:11]
	v_fma_f64 v[89:90], v[99:100], s[4:5], v[2:3]
	v_fma_f64 v[2:3], v[99:100], s[0:1], v[2:3]
	v_add_f64_e32 v[24:25], v[24:25], v[28:29]
	v_add_f64_e32 v[4:5], v[20:21], v[4:5]
	;; [unrolled: 1-line block ×3, first 2 shown]
	v_fma_f64 v[20:21], v[95:96], s[10:11], v[32:33]
	v_fma_f64 v[32:33], v[99:100], s[10:11], v[58:59]
	;; [unrolled: 1-line block ×9, first 2 shown]
	v_add_f64_e32 v[26:27], v[26:27], v[36:37]
	v_add_f64_e32 v[69:70], v[79:80], v[77:78]
	;; [unrolled: 1-line block ×3, first 2 shown]
	v_fma_f64 v[28:29], v[30:31], s[10:11], v[38:39]
	v_fma_f64 v[0:1], v[30:31], s[12:13], v[0:1]
	;; [unrolled: 1-line block ×5, first 2 shown]
	v_add_f64_e32 v[16:17], v[81:82], v[16:17]
	v_add_f64_e32 v[18:19], v[87:88], v[18:19]
	v_fma_f64 v[34:35], v[97:98], s[12:13], v[89:90]
	v_fma_f64 v[2:3], v[97:98], s[10:11], v[2:3]
	v_add_f64_e32 v[8:9], v[8:9], v[24:25]
	v_add_f64_e32 v[4:5], v[12:13], v[4:5]
	;; [unrolled: 1-line block ×3, first 2 shown]
	v_mul_f64_e32 v[44:45], s[18:19], v[52:53]
	v_mul_f64_e32 v[46:47], s[14:15], v[54:55]
	;; [unrolled: 1-line block ×8, first 2 shown]
	v_add_f64_e32 v[10:11], v[10:11], v[26:27]
	v_fma_f64 v[24:25], v[69:70], s[14:15], v[20:21]
	v_fma_f64 v[26:27], v[69:70], s[14:15], v[22:23]
	;; [unrolled: 1-line block ×8, first 2 shown]
	v_and_b32_e32 v0, 0xff, v68
	v_fma_f64 v[32:33], v[36:37], s[10:11], v[44:45]
	v_fma_f64 v[44:45], v[38:39], s[4:5], v[46:47]
	v_fma_f64 v[46:47], v[64:65], s[4:5], -v[48:49]
	v_fma_f64 v[48:49], v[66:67], s[10:11], -v[50:51]
	v_fma_f64 v[50:51], v[36:37], s[18:19], v[52:53]
	v_fma_f64 v[38:39], v[38:39], s[14:15], v[54:55]
	v_fma_f64 v[42:43], v[42:43], s[0:1], -v[56:57]
	v_fma_f64 v[40:41], v[40:41], s[12:13], -v[58:59]
	v_mul_lo_u16 v52, 0xcd, v0
	v_add_f64_e32 v[0:1], v[4:5], v[8:9]
	v_add_f64_e32 v[2:3], v[6:7], v[10:11]
	v_add_f64_e64 v[4:5], v[8:9], -v[4:5]
	v_add_f64_e64 v[6:7], v[10:11], -v[6:7]
	v_add_f64_e32 v[8:9], v[24:25], v[32:33]
	v_add_f64_e32 v[12:13], v[28:29], v[44:45]
	;; [unrolled: 1-line block ×8, first 2 shown]
	v_add_f64_e64 v[24:25], v[24:25], -v[32:33]
	v_add_f64_e64 v[36:37], v[26:27], -v[48:49]
	;; [unrolled: 1-line block ×8, first 2 shown]
	v_lshrrev_b16 v41, 11, v52
	s_delay_alu instid0(VALU_DEP_1) | instskip(SKIP_1) | instid1(VALU_DEP_2)
	v_mul_lo_u16 v40, v41, 10
	v_and_b32_e32 v41, 0xffff, v41
	v_sub_nc_u16 v40, v68, v40
	s_delay_alu instid0(VALU_DEP_2) | instskip(NEXT) | instid1(VALU_DEP_2)
	v_mul_u32_u24_e32 v41, 0x640, v41
	v_and_b32_e32 v42, 0xff, v40
	v_mul_u32_u24_e32 v40, 10, v68
	s_delay_alu instid0(VALU_DEP_2) | instskip(NEXT) | instid1(VALU_DEP_2)
	v_mul_u32_u24_e32 v43, 9, v42
	v_lshl_add_u32 v40, v40, 4, 0
	ds_store_b128 v40, v[0:3]
	ds_store_b128 v40, v[8:11] offset:16
	ds_store_b128 v40, v[12:15] offset:32
	;; [unrolled: 1-line block ×9, first 2 shown]
	v_lshlrev_b32_e32 v43, 4, v43
	global_wb scope:SCOPE_SE
	s_wait_dscnt 0x0
	s_wait_kmcnt 0x0
	s_barrier_signal -1
	s_barrier_wait -1
	global_inv scope:SCOPE_SE
	s_clause 0x8
	global_load_b128 v[0:3], v43, s[8:9] offset:32
	global_load_b128 v[4:7], v43, s[8:9] offset:64
	;; [unrolled: 1-line block ×4, first 2 shown]
	global_load_b128 v[16:19], v43, s[8:9]
	global_load_b128 v[20:23], v43, s[8:9] offset:16
	global_load_b128 v[24:27], v43, s[8:9] offset:48
	;; [unrolled: 1-line block ×4, first 2 shown]
	v_mad_i32_i24 v59, 0xffffff70, v68, v40
	ds_load_b128 v[36:39], v59 offset:6240
	ds_load_b128 v[43:46], v59 offset:10400
	;; [unrolled: 1-line block ×9, first 2 shown]
	ds_load_b128 v[81:84], v59
	v_lshlrev_b32_e32 v42, 4, v42
	global_wb scope:SCOPE_SE
	s_wait_loadcnt_dscnt 0x0
	s_barrier_signal -1
	s_barrier_wait -1
	global_inv scope:SCOPE_SE
	v_add3_u32 v41, 0, v41, v42
	v_mul_f64_e32 v[85:86], v[38:39], v[2:3]
	v_mul_f64_e32 v[2:3], v[36:37], v[2:3]
	;; [unrolled: 1-line block ×10, first 2 shown]
	v_fma_f64 v[36:37], v[36:37], v[0:1], -v[85:86]
	v_fma_f64 v[0:1], v[38:39], v[0:1], v[2:3]
	v_fma_f64 v[2:3], v[43:44], v[4:5], -v[87:88]
	v_fma_f64 v[4:5], v[45:46], v[4:5], v[6:7]
	v_fma_f64 v[6:7], v[49:50], v[8:9], v[89:90]
	;; [unrolled: 1-line block ×3, first 2 shown]
	v_fma_f64 v[12:13], v[51:52], v[12:13], -v[14:15]
	v_fma_f64 v[8:9], v[47:48], v[8:9], -v[10:11]
	v_mul_f64_e32 v[10:11], v[57:58], v[22:23]
	v_mul_f64_e32 v[14:15], v[55:56], v[22:23]
	;; [unrolled: 1-line block ×8, first 2 shown]
	v_fma_f64 v[47:48], v[77:78], v[16:17], -v[93:94]
	v_fma_f64 v[16:17], v[79:80], v[16:17], v[18:19]
	v_add_f64_e64 v[77:78], v[0:1], -v[4:5]
	v_add_f64_e32 v[18:19], v[4:5], v[6:7]
	v_add_f64_e32 v[49:50], v[0:1], v[38:39]
	v_add_f64_e32 v[51:52], v[36:37], v[12:13]
	v_add_f64_e32 v[53:54], v[2:3], v[8:9]
	v_fma_f64 v[10:11], v[55:56], v[20:21], -v[10:11]
	v_fma_f64 v[14:15], v[57:58], v[20:21], v[14:15]
	v_fma_f64 v[20:21], v[64:65], v[24:25], -v[22:23]
	v_fma_f64 v[22:23], v[66:67], v[24:25], v[26:27]
	v_fma_f64 v[24:25], v[69:70], v[28:29], -v[43:44]
	v_fma_f64 v[26:27], v[73:74], v[32:33], -v[45:46]
	v_fma_f64 v[28:29], v[71:72], v[28:29], v[30:31]
	v_fma_f64 v[30:31], v[75:76], v[32:33], v[34:35]
	v_add_f64_e64 v[32:33], v[0:1], -v[38:39]
	v_add_f64_e64 v[34:35], v[4:5], -v[6:7]
	;; [unrolled: 1-line block ×11, first 2 shown]
	v_add_f64_e32 v[36:37], v[47:48], v[36:37]
	v_add_f64_e32 v[0:1], v[16:17], v[0:1]
	v_fma_f64 v[18:19], v[18:19], -0.5, v[16:17]
	v_fma_f64 v[49:50], v[49:50], -0.5, v[16:17]
	;; [unrolled: 1-line block ×4, first 2 shown]
	v_add_f64_e32 v[47:48], v[81:82], v[10:11]
	v_add_f64_e32 v[16:17], v[83:84], v[14:15]
	;; [unrolled: 1-line block ×6, first 2 shown]
	v_add_f64_e64 v[97:98], v[14:15], -v[30:31]
	v_add_f64_e64 v[99:100], v[22:23], -v[28:29]
	v_add_f64_e64 v[101:102], v[10:11], -v[26:27]
	v_add_f64_e64 v[103:104], v[20:21], -v[24:25]
	v_add_f64_e32 v[69:70], v[69:70], v[71:72]
	v_add_f64_e32 v[71:72], v[73:74], v[75:76]
	;; [unrolled: 1-line block ×4, first 2 shown]
	v_add_f64_e64 v[85:86], v[30:31], -v[28:29]
	v_add_f64_e64 v[87:88], v[28:29], -v[30:31]
	v_add_f64_e32 v[2:3], v[36:37], v[2:3]
	v_add_f64_e32 v[0:1], v[0:1], v[4:5]
	v_fma_f64 v[89:90], v[43:44], s[0:1], v[18:19]
	v_fma_f64 v[91:92], v[45:46], s[4:5], v[49:50]
	;; [unrolled: 1-line block ×8, first 2 shown]
	v_fma_f64 v[55:56], v[55:56], -0.5, v[81:82]
	v_fma_f64 v[57:58], v[57:58], -0.5, v[81:82]
	;; [unrolled: 1-line block ×4, first 2 shown]
	v_add_f64_e32 v[16:17], v[16:17], v[22:23]
	v_add_f64_e32 v[2:3], v[2:3], v[8:9]
	;; [unrolled: 1-line block ×3, first 2 shown]
	v_fma_f64 v[77:78], v[45:46], s[12:13], v[89:90]
	v_fma_f64 v[79:80], v[43:44], s[12:13], v[91:92]
	v_fma_f64 v[81:82], v[32:33], s[12:13], v[93:94]
	v_fma_f64 v[83:84], v[34:35], s[12:13], v[95:96]
	v_fma_f64 v[34:35], v[34:35], s[10:11], v[53:54]
	v_fma_f64 v[32:33], v[32:33], s[10:11], v[51:52]
	v_fma_f64 v[43:44], v[43:44], s[10:11], v[49:50]
	v_fma_f64 v[18:19], v[45:46], s[10:11], v[18:19]
	v_add_f64_e64 v[45:46], v[10:11], -v[20:21]
	v_add_f64_e64 v[49:50], v[26:27], -v[24:25]
	;; [unrolled: 1-line block ×6, first 2 shown]
	v_add_f64_e32 v[20:21], v[47:48], v[20:21]
	v_fma_f64 v[4:5], v[97:98], s[4:5], v[55:56]
	v_fma_f64 v[22:23], v[97:98], s[0:1], v[55:56]
	;; [unrolled: 1-line block ×8, first 2 shown]
	v_add_f64_e32 v[16:17], v[16:17], v[28:29]
	v_add_f64_e32 v[12:13], v[2:3], v[12:13]
	v_fma_f64 v[77:78], v[73:74], s[14:15], v[77:78]
	v_fma_f64 v[79:80], v[75:76], s[14:15], v[79:80]
	;; [unrolled: 1-line block ×8, first 2 shown]
	v_add_f64_e32 v[45:46], v[45:46], v[49:50]
	v_add_f64_e32 v[10:11], v[10:11], v[51:52]
	;; [unrolled: 1-line block ×5, first 2 shown]
	v_fma_f64 v[4:5], v[99:100], s[10:11], v[4:5]
	v_fma_f64 v[6:7], v[99:100], s[12:13], v[22:23]
	;; [unrolled: 1-line block ×8, first 2 shown]
	v_add_f64_e32 v[16:17], v[16:17], v[30:31]
	v_mul_f64_e32 v[51:52], s[10:11], v[77:78]
	v_mul_f64_e32 v[53:54], s[4:5], v[79:80]
	;; [unrolled: 1-line block ×8, first 2 shown]
	v_add_f64_e32 v[20:21], v[20:21], v[26:27]
	v_add_f64_e32 v[26:27], v[0:1], v[38:39]
	v_fma_f64 v[38:39], v[45:46], s[14:15], v[4:5]
	v_fma_f64 v[45:46], v[45:46], s[14:15], v[6:7]
	;; [unrolled: 1-line block ×10, first 2 shown]
	v_fma_f64 v[32:33], v[43:44], s[4:5], -v[55:56]
	v_fma_f64 v[34:35], v[18:19], s[10:11], -v[57:58]
	v_fma_f64 v[43:44], v[77:78], s[18:19], v[64:65]
	v_fma_f64 v[51:52], v[79:80], s[14:15], v[66:67]
	v_fma_f64 v[53:54], v[81:82], s[0:1], -v[69:70]
	v_fma_f64 v[55:56], v[83:84], s[12:13], -v[71:72]
	v_cmp_gt_u32_e64 s0, 0x64, v68
	v_add_f64_e32 v[0:1], v[20:21], v[12:13]
	v_add_f64_e32 v[2:3], v[16:17], v[26:27]
	v_add_f64_e64 v[12:13], v[20:21], -v[12:13]
	v_add_f64_e64 v[14:15], v[16:17], -v[26:27]
	v_add_f64_e32 v[16:17], v[38:39], v[8:9]
	v_add_f64_e32 v[4:5], v[73:74], v[24:25]
	;; [unrolled: 1-line block ×8, first 2 shown]
	v_add_f64_e64 v[8:9], v[38:39], -v[8:9]
	v_add_f64_e64 v[24:25], v[73:74], -v[24:25]
	;; [unrolled: 1-line block ×8, first 2 shown]
                                        ; implicit-def: $vgpr50_vgpr51
                                        ; implicit-def: $vgpr42_vgpr43
                                        ; implicit-def: $vgpr46_vgpr47
	ds_store_b128 v41, v[0:3]
	ds_store_b128 v41, v[16:19] offset:160
	ds_store_b128 v41, v[4:7] offset:320
	;; [unrolled: 1-line block ×9, first 2 shown]
	global_wb scope:SCOPE_SE
	s_wait_dscnt 0x0
	s_barrier_signal -1
	s_barrier_wait -1
	global_inv scope:SCOPE_SE
	s_and_saveexec_b32 s1, s0
	s_cbranch_execz .LBB0_15
; %bb.14:
	v_mul_i32_i24_e32 v0, 0xffffff70, v68
	s_delay_alu instid0(VALU_DEP_1)
	v_add_nc_u32_e32 v48, v40, v0
	ds_load_b128 v[0:3], v48
	ds_load_b128 v[16:19], v48 offset:1600
	ds_load_b128 v[4:7], v48 offset:3200
	;; [unrolled: 1-line block ×12, first 2 shown]
.LBB0_15:
	s_wait_alu 0xfffe
	s_or_b32 exec_lo, exec_lo, s1
	v_cmp_gt_u32_e64 s1, 0x64, v68
	s_delay_alu instid0(VALU_DEP_1)
	s_and_b32 s1, vcc_lo, s1
	s_wait_alu 0xfffe
	s_and_saveexec_b32 s4, s1
	s_cbranch_execz .LBB0_17
; %bb.16:
	v_dual_mov_b32 v53, 0 :: v_dual_add_nc_u32 v52, 0xffffff9c, v68
	s_mov_b32 s4, 0x1ea71119
	s_mov_b32 s5, 0x3fe22d96
	;; [unrolled: 1-line block ×3, first 2 shown]
	s_delay_alu instid0(VALU_DEP_1)
	v_cndmask_b32_e64 v52, v52, v68, s0
	s_mov_b32 s0, 0xe00740e9
	s_mov_b32 s1, 0x3fec55a7
	;; [unrolled: 1-line block ×4, first 2 shown]
	v_mul_i32_i24_e32 v52, 12, v52
	s_mov_b32 s11, 0xbfefc445
	s_mov_b32 s18, 0xb2365da1
	;; [unrolled: 1-line block ×4, first 2 shown]
	v_lshlrev_b64_e32 v[52:53], 4, v[52:53]
	s_mov_b32 s23, 0x3fedeba7
	s_mov_b32 s29, 0xbfedeba7
	;; [unrolled: 1-line block ×5, first 2 shown]
	v_add_co_u32 v64, vcc_lo, s8, v52
	s_wait_alu 0xfffd
	v_add_co_ci_u32_e32 v65, vcc_lo, s9, v53, vcc_lo
	s_mov_b32 s8, 0xd0032e0c
	s_mov_b32 s9, 0xbfe7f3cc
	;; [unrolled: 1-line block ×3, first 2 shown]
	s_clause 0x3
	global_load_b128 v[56:59], v[64:65], off offset:1440
	global_load_b128 v[52:55], v[64:65], off offset:1456
	;; [unrolled: 1-line block ×4, first 2 shown]
	s_wait_alu 0xfffe
	s_mov_b32 s26, s12
	s_mov_b32 s14, 0x93053d00
	;; [unrolled: 1-line block ×7, first 2 shown]
	v_add_nc_u32_e32 v85, 0x64, v68
	s_mov_b32 s35, 0x3fefc445
	s_mov_b32 s34, s10
	;; [unrolled: 1-line block ×3, first 2 shown]
	v_add_nc_u32_e32 v109, 0xc8, v68
	v_add_nc_u32_e32 v133, 0x12c, v68
	s_mov_b32 s39, 0x3fea55e2
	s_mov_b32 s38, s24
	v_add_nc_u32_e32 v157, 0x190, v68
	v_add_nc_u32_e32 v181, 0x1f4, v68
	s_wait_loadcnt_dscnt 0x30b
	v_mul_f64_e32 v[66:67], v[18:19], v[56:57]
	v_mul_f64_e32 v[18:19], v[18:19], v[58:59]
	s_delay_alu instid0(VALU_DEP_2) | instskip(NEXT) | instid1(VALU_DEP_2)
	v_fma_f64 v[66:67], v[16:17], v[58:59], v[66:67]
	v_fma_f64 v[16:17], v[16:17], v[56:57], -v[18:19]
	s_wait_loadcnt_dscnt 0x100
	v_mul_f64_e32 v[18:19], v[50:51], v[69:70]
	s_delay_alu instid0(VALU_DEP_1) | instskip(SKIP_1) | instid1(VALU_DEP_1)
	v_fma_f64 v[56:57], v[48:49], v[71:72], v[18:19]
	v_mul_f64_e32 v[18:19], v[50:51], v[71:72]
	v_fma_f64 v[48:49], v[48:49], v[69:70], -v[18:19]
	global_load_b128 v[69:72], v[64:65], off offset:1472
	s_wait_loadcnt 0x0
	v_mul_f64_e32 v[18:19], v[30:31], v[69:70]
	v_mul_f64_e32 v[30:31], v[30:31], v[71:72]
	s_delay_alu instid0(VALU_DEP_2) | instskip(NEXT) | instid1(VALU_DEP_2)
	v_fma_f64 v[18:19], v[28:29], v[71:72], v[18:19]
	v_fma_f64 v[30:31], v[28:29], v[69:70], -v[30:31]
	s_clause 0x1
	global_load_b128 v[69:72], v[64:65], off offset:1584
	global_load_b128 v[77:80], v[64:65], off offset:1568
	s_wait_loadcnt 0x1
	v_mul_f64_e32 v[28:29], v[46:47], v[69:70]
	s_delay_alu instid0(VALU_DEP_1) | instskip(SKIP_1) | instid1(VALU_DEP_1)
	v_fma_f64 v[50:51], v[44:45], v[71:72], v[28:29]
	v_mul_f64_e32 v[28:29], v[46:47], v[71:72]
	v_fma_f64 v[44:45], v[44:45], v[69:70], -v[28:29]
	s_clause 0x1
	global_load_b128 v[69:72], v[64:65], off offset:1504
	global_load_b128 v[81:84], v[64:65], off offset:1520
	s_wait_loadcnt 0x1
	v_mul_f64_e32 v[28:29], v[14:15], v[69:70]
	v_mul_f64_e32 v[14:15], v[14:15], v[71:72]
	s_delay_alu instid0(VALU_DEP_2) | instskip(NEXT) | instid1(VALU_DEP_2)
	v_fma_f64 v[28:29], v[12:13], v[71:72], v[28:29]
	v_fma_f64 v[12:13], v[12:13], v[69:70], -v[14:15]
	global_load_b128 v[69:72], v[64:65], off offset:1488
	s_wait_loadcnt 0x0
	v_mul_f64_e32 v[14:15], v[22:23], v[69:70]
	v_mul_f64_e32 v[22:23], v[22:23], v[71:72]
	s_delay_alu instid0(VALU_DEP_2) | instskip(NEXT) | instid1(VALU_DEP_2)
	v_fma_f64 v[14:15], v[20:21], v[71:72], v[14:15]
	v_fma_f64 v[20:21], v[20:21], v[69:70], -v[22:23]
	v_mul_f64_e32 v[22:23], v[38:39], v[77:78]
	s_delay_alu instid0(VALU_DEP_1) | instskip(SKIP_2) | instid1(VALU_DEP_2)
	v_fma_f64 v[46:47], v[36:37], v[79:80], v[22:23]
	v_mul_f64_e32 v[22:23], v[38:39], v[79:80]
	v_mul_f64_e32 v[38:39], v[42:43], v[75:76]
	v_fma_f64 v[36:37], v[36:37], v[77:78], -v[22:23]
	s_clause 0x1
	global_load_b128 v[69:72], v[64:65], off offset:1552
	global_load_b128 v[77:80], v[64:65], off offset:1536
	v_fma_f64 v[38:39], v[40:41], v[73:74], -v[38:39]
	s_wait_loadcnt 0x1
	v_mul_f64_e32 v[22:23], v[34:35], v[69:70]
	v_mul_f64_e32 v[34:35], v[34:35], v[71:72]
	s_delay_alu instid0(VALU_DEP_2) | instskip(NEXT) | instid1(VALU_DEP_2)
	v_fma_f64 v[22:23], v[32:33], v[71:72], v[22:23]
	v_fma_f64 v[32:33], v[32:33], v[69:70], -v[34:35]
	v_mul_f64_e32 v[34:35], v[10:11], v[81:82]
	v_mul_f64_e32 v[10:11], v[10:11], v[83:84]
	s_delay_alu instid0(VALU_DEP_2) | instskip(NEXT) | instid1(VALU_DEP_2)
	v_fma_f64 v[34:35], v[8:9], v[83:84], v[34:35]
	v_fma_f64 v[8:9], v[8:9], v[81:82], -v[10:11]
	s_wait_loadcnt 0x0
	v_mul_f64_e32 v[10:11], v[26:27], v[77:78]
	v_mul_f64_e32 v[26:27], v[26:27], v[79:80]
	s_delay_alu instid0(VALU_DEP_2) | instskip(NEXT) | instid1(VALU_DEP_2)
	v_fma_f64 v[10:11], v[24:25], v[79:80], v[10:11]
	v_fma_f64 v[24:25], v[24:25], v[77:78], -v[26:27]
	v_mul_f64_e32 v[26:27], v[6:7], v[52:53]
	v_mul_f64_e32 v[6:7], v[6:7], v[54:55]
	s_delay_alu instid0(VALU_DEP_2) | instskip(NEXT) | instid1(VALU_DEP_2)
	v_fma_f64 v[26:27], v[4:5], v[54:55], v[26:27]
	v_fma_f64 v[4:5], v[4:5], v[52:53], -v[6:7]
	v_mul_f64_e32 v[6:7], v[42:43], v[73:74]
	v_mul_lo_u32 v42, s3, v62
	v_mul_lo_u32 v43, s2, v63
	v_add_f64_e32 v[52:53], v[0:1], v[16:17]
	s_delay_alu instid0(VALU_DEP_4) | instskip(SKIP_1) | instid1(VALU_DEP_3)
	v_fma_f64 v[6:7], v[40:41], v[75:76], v[6:7]
	v_mad_co_u64_u32 v[40:41], null, s2, v62, 0
	v_add_f64_e32 v[52:53], v[4:5], v[52:53]
	s_mov_b32 s2, 0x4267c47c
	s_mov_b32 s3, 0xbfddbe06
	s_wait_alu 0xfffe
	s_mov_b32 s36, s2
	s_delay_alu instid0(VALU_DEP_2) | instskip(SKIP_1) | instid1(VALU_DEP_2)
	v_add3_u32 v41, v41, v43, v42
	v_add_f64_e32 v[42:43], v[2:3], v[66:67]
	v_lshlrev_b64_e32 v[40:41], 4, v[40:41]
	s_delay_alu instid0(VALU_DEP_4) | instskip(NEXT) | instid1(VALU_DEP_3)
	v_add_f64_e32 v[52:53], v[30:31], v[52:53]
	v_add_f64_e32 v[42:43], v[26:27], v[42:43]
	s_delay_alu instid0(VALU_DEP_2) | instskip(NEXT) | instid1(VALU_DEP_2)
	v_add_f64_e32 v[52:53], v[20:21], v[52:53]
	v_add_f64_e32 v[42:43], v[18:19], v[42:43]
	s_delay_alu instid0(VALU_DEP_2) | instskip(NEXT) | instid1(VALU_DEP_2)
	;; [unrolled: 3-line block ×9, first 2 shown]
	v_add_f64_e32 v[52:53], v[48:49], v[52:53]
	v_add_f64_e32 v[42:43], v[6:7], v[42:43]
	s_delay_alu instid0(VALU_DEP_1) | instskip(SKIP_1) | instid1(VALU_DEP_1)
	v_add_f64_e32 v[54:55], v[56:57], v[42:43]
	v_mad_co_u64_u32 v[42:43], null, s16, v68, 0
	v_mad_co_u64_u32 v[58:59], null, s17, v68, v[43:44]
	s_delay_alu instid0(VALU_DEP_1)
	v_mov_b32_e32 v43, v58
	v_add_co_u32 v58, vcc_lo, s6, v40
	s_wait_alu 0xfffd
	v_add_co_ci_u32_e32 v59, vcc_lo, s7, v41, vcc_lo
	v_lshlrev_b64_e32 v[40:41], 4, v[60:61]
	v_lshlrev_b64_e32 v[42:43], 4, v[42:43]
	s_mov_b32 s6, 0xebaa3ed8
	s_mov_b32 s7, 0x3fbedb7d
	s_delay_alu instid0(VALU_DEP_2) | instskip(SKIP_3) | instid1(VALU_DEP_3)
	v_add_co_u32 v40, vcc_lo, v58, v40
	s_wait_alu 0xfffd
	v_add_co_ci_u32_e32 v41, vcc_lo, v59, v41, vcc_lo
	v_add_f64_e32 v[58:59], v[18:19], v[50:51]
	v_add_co_u32 v42, vcc_lo, v40, v42
	s_wait_alu 0xfffd
	s_delay_alu instid0(VALU_DEP_3)
	v_add_co_ci_u32_e32 v43, vcc_lo, v41, v43, vcc_lo
	v_add_f64_e64 v[18:19], v[18:19], -v[50:51]
	v_add_f64_e64 v[50:51], v[30:31], -v[44:45]
	v_add_f64_e32 v[30:31], v[30:31], v[44:45]
	global_store_b128 v[42:43], v[52:55], off
	v_add_f64_e32 v[42:43], v[66:67], v[56:57]
	v_add_f64_e64 v[54:55], v[16:17], -v[48:49]
	v_add_f64_e32 v[16:17], v[16:17], v[48:49]
	v_add_f64_e32 v[48:49], v[26:27], v[6:7]
	;; [unrolled: 1-line block ×3, first 2 shown]
	v_add_f64_e64 v[14:15], v[14:15], -v[46:47]
	v_add_f64_e64 v[46:47], v[20:21], -v[36:37]
	v_add_f64_e32 v[20:21], v[20:21], v[36:37]
	v_add_f64_e32 v[36:37], v[34:35], v[10:11]
	v_add_f64_e64 v[10:11], v[34:35], -v[10:11]
	v_add_f64_e64 v[34:35], v[8:9], -v[24:25]
	v_add_f64_e32 v[24:25], v[8:9], v[24:25]
	v_add_f64_e32 v[8:9], v[28:29], v[22:23]
	v_add_f64_e64 v[22:23], v[28:29], -v[22:23]
	v_add_f64_e64 v[28:29], v[12:13], -v[32:33]
	v_add_f64_e32 v[32:33], v[12:13], v[32:33]
	v_add_f64_e64 v[52:53], v[66:67], -v[56:57]
	v_add_f64_e64 v[56:57], v[4:5], -v[38:39]
	v_add_f64_e32 v[38:39], v[4:5], v[38:39]
	v_add_f64_e64 v[26:27], v[26:27], -v[6:7]
	v_mul_f64_e32 v[12:13], s[0:1], v[42:43]
	v_mul_f64_e32 v[60:61], s[4:5], v[48:49]
	;; [unrolled: 1-line block ×5, first 2 shown]
	s_wait_alu 0xfffe
	v_mul_f64_e32 v[107:108], s[36:37], v[10:11]
	v_mul_f64_e32 v[129:130], s[8:9], v[36:37]
	;; [unrolled: 1-line block ×20, first 2 shown]
	v_fma_f64 v[4:5], v[54:55], s[2:3], v[12:13]
	v_fma_f64 v[12:13], v[54:55], s[36:37], v[12:13]
	;; [unrolled: 1-line block ×3, first 2 shown]
	v_fma_f64 v[66:67], v[38:39], s[4:5], -v[64:65]
	v_fma_f64 v[91:92], v[38:39], s[18:19], -v[89:90]
	;; [unrolled: 1-line block ×5, first 2 shown]
	v_add_f64_e32 v[4:5], v[2:3], v[4:5]
	s_delay_alu instid0(VALU_DEP_1) | instskip(SKIP_1) | instid1(VALU_DEP_1)
	v_add_f64_e32 v[4:5], v[6:7], v[4:5]
	v_fma_f64 v[6:7], v[16:17], s[0:1], -v[62:63]
	v_add_f64_e32 v[6:7], v[0:1], v[6:7]
	s_delay_alu instid0(VALU_DEP_1) | instskip(SKIP_1) | instid1(VALU_DEP_1)
	v_add_f64_e32 v[6:7], v[66:67], v[6:7]
	v_mul_f64_e32 v[66:67], s[6:7], v[58:59]
	v_fma_f64 v[69:70], v[50:51], s[10:11], v[66:67]
	s_delay_alu instid0(VALU_DEP_1) | instskip(SKIP_1) | instid1(VALU_DEP_1)
	v_add_f64_e32 v[4:5], v[69:70], v[4:5]
	v_mul_f64_e32 v[69:70], s[10:11], v[18:19]
	v_fma_f64 v[71:72], v[30:31], s[6:7], -v[69:70]
	s_delay_alu instid0(VALU_DEP_1) | instskip(SKIP_1) | instid1(VALU_DEP_1)
	v_add_f64_e32 v[6:7], v[71:72], v[6:7]
	v_mul_f64_e32 v[71:72], s[18:19], v[44:45]
	v_fma_f64 v[73:74], v[46:47], s[28:29], v[71:72]
	s_delay_alu instid0(VALU_DEP_1) | instskip(SKIP_1) | instid1(VALU_DEP_1)
	v_add_f64_e32 v[4:5], v[73:74], v[4:5]
	v_mul_f64_e32 v[73:74], s[28:29], v[14:15]
	v_fma_f64 v[75:76], v[20:21], s[18:19], -v[73:74]
	;; [unrolled: 8-line block ×3, first 2 shown]
	s_delay_alu instid0(VALU_DEP_1) | instskip(SKIP_1) | instid1(VALU_DEP_1)
	v_add_f64_e32 v[79:80], v[79:80], v[6:7]
	v_fma_f64 v[6:7], v[34:35], s[30:31], v[81:82]
	v_add_f64_e32 v[6:7], v[6:7], v[4:5]
	v_fma_f64 v[4:5], v[24:25], s[14:15], -v[83:84]
	s_delay_alu instid0(VALU_DEP_1) | instskip(SKIP_1) | instid1(VALU_DEP_1)
	v_add_f64_e32 v[4:5], v[4:5], v[79:80]
	v_mad_co_u64_u32 v[79:80], null, s16, v85, 0
	v_mad_co_u64_u32 v[85:86], null, s17, v85, v[80:81]
	s_delay_alu instid0(VALU_DEP_1) | instskip(SKIP_1) | instid1(VALU_DEP_2)
	v_mov_b32_e32 v80, v85
	v_mul_f64_e32 v[85:86], s[18:19], v[48:49]
	v_lshlrev_b64_e32 v[79:80], 4, v[79:80]
	s_delay_alu instid0(VALU_DEP_1) | instskip(SKIP_1) | instid1(VALU_DEP_2)
	v_add_co_u32 v79, vcc_lo, v40, v79
	s_wait_alu 0xfffd
	v_add_co_ci_u32_e32 v80, vcc_lo, v41, v80, vcc_lo
	global_store_b128 v[79:80], v[4:7], off
	v_mul_f64_e32 v[79:80], s[4:5], v[42:43]
	v_fma_f64 v[6:7], v[56:57], s[28:29], v[85:86]
	s_delay_alu instid0(VALU_DEP_2) | instskip(SKIP_1) | instid1(VALU_DEP_2)
	v_fma_f64 v[4:5], v[54:55], s[24:25], v[79:80]
	v_fma_f64 v[79:80], v[54:55], s[38:39], v[79:80]
	v_add_f64_e32 v[4:5], v[2:3], v[4:5]
	s_delay_alu instid0(VALU_DEP_2) | instskip(NEXT) | instid1(VALU_DEP_2)
	v_add_f64_e32 v[79:80], v[2:3], v[79:80]
	v_add_f64_e32 v[4:5], v[6:7], v[4:5]
	v_fma_f64 v[6:7], v[16:17], s[4:5], -v[87:88]
	v_fma_f64 v[87:88], v[16:17], s[4:5], v[87:88]
	s_delay_alu instid0(VALU_DEP_2) | instskip(NEXT) | instid1(VALU_DEP_2)
	v_add_f64_e32 v[6:7], v[0:1], v[6:7]
	v_add_f64_e32 v[87:88], v[0:1], v[87:88]
	s_delay_alu instid0(VALU_DEP_2) | instskip(SKIP_1) | instid1(VALU_DEP_1)
	v_add_f64_e32 v[6:7], v[91:92], v[6:7]
	v_mul_f64_e32 v[91:92], s[14:15], v[58:59]
	v_fma_f64 v[93:94], v[50:51], s[30:31], v[91:92]
	s_delay_alu instid0(VALU_DEP_1) | instskip(SKIP_1) | instid1(VALU_DEP_1)
	v_add_f64_e32 v[4:5], v[93:94], v[4:5]
	v_mul_f64_e32 v[93:94], s[30:31], v[18:19]
	v_fma_f64 v[95:96], v[30:31], s[14:15], -v[93:94]
	s_delay_alu instid0(VALU_DEP_1) | instskip(SKIP_1) | instid1(VALU_DEP_1)
	v_add_f64_e32 v[6:7], v[95:96], v[6:7]
	v_mul_f64_e32 v[95:96], s[8:9], v[44:45]
	v_fma_f64 v[97:98], v[46:47], s[12:13], v[95:96]
	s_delay_alu instid0(VALU_DEP_1) | instskip(SKIP_1) | instid1(VALU_DEP_1)
	v_add_f64_e32 v[4:5], v[97:98], v[4:5]
	v_mul_f64_e32 v[97:98], s[12:13], v[14:15]
	v_fma_f64 v[99:100], v[20:21], s[8:9], -v[97:98]
	s_delay_alu instid0(VALU_DEP_1) | instskip(SKIP_1) | instid1(VALU_DEP_1)
	v_add_f64_e32 v[6:7], v[99:100], v[6:7]
	v_mul_f64_e32 v[99:100], s[6:7], v[8:9]
	v_fma_f64 v[101:102], v[28:29], s[34:35], v[99:100]
	s_delay_alu instid0(VALU_DEP_1) | instskip(SKIP_1) | instid1(VALU_DEP_1)
	v_add_f64_e32 v[4:5], v[101:102], v[4:5]
	v_mul_f64_e32 v[101:102], s[34:35], v[22:23]
	v_fma_f64 v[103:104], v[32:33], s[6:7], -v[101:102]
	s_delay_alu instid0(VALU_DEP_1) | instskip(SKIP_1) | instid1(VALU_DEP_1)
	v_add_f64_e32 v[103:104], v[103:104], v[6:7]
	v_fma_f64 v[6:7], v[34:35], s[36:37], v[105:106]
	v_add_f64_e32 v[6:7], v[6:7], v[4:5]
	v_fma_f64 v[4:5], v[24:25], s[0:1], -v[107:108]
	s_delay_alu instid0(VALU_DEP_1) | instskip(SKIP_1) | instid1(VALU_DEP_1)
	v_add_f64_e32 v[4:5], v[4:5], v[103:104]
	v_mad_co_u64_u32 v[103:104], null, s16, v109, 0
	v_mad_co_u64_u32 v[109:110], null, s17, v109, v[104:105]
	s_delay_alu instid0(VALU_DEP_1) | instskip(SKIP_1) | instid1(VALU_DEP_2)
	v_mov_b32_e32 v104, v109
	v_mul_f64_e32 v[109:110], s[14:15], v[48:49]
	v_lshlrev_b64_e32 v[103:104], 4, v[103:104]
	s_delay_alu instid0(VALU_DEP_1) | instskip(SKIP_1) | instid1(VALU_DEP_2)
	v_add_co_u32 v103, vcc_lo, v40, v103
	s_wait_alu 0xfffd
	v_add_co_ci_u32_e32 v104, vcc_lo, v41, v104, vcc_lo
	global_store_b128 v[103:104], v[4:7], off
	v_mul_f64_e32 v[103:104], s[6:7], v[42:43]
	v_fma_f64 v[6:7], v[56:57], s[30:31], v[109:110]
	s_delay_alu instid0(VALU_DEP_2) | instskip(SKIP_1) | instid1(VALU_DEP_2)
	v_fma_f64 v[4:5], v[54:55], s[10:11], v[103:104]
	v_fma_f64 v[103:104], v[54:55], s[34:35], v[103:104]
	v_add_f64_e32 v[4:5], v[2:3], v[4:5]
	s_delay_alu instid0(VALU_DEP_2) | instskip(NEXT) | instid1(VALU_DEP_2)
	v_add_f64_e32 v[103:104], v[2:3], v[103:104]
	v_add_f64_e32 v[4:5], v[6:7], v[4:5]
	v_fma_f64 v[6:7], v[16:17], s[6:7], -v[111:112]
	v_fma_f64 v[111:112], v[16:17], s[6:7], v[111:112]
	s_delay_alu instid0(VALU_DEP_2) | instskip(NEXT) | instid1(VALU_DEP_2)
	v_add_f64_e32 v[6:7], v[0:1], v[6:7]
	v_add_f64_e32 v[111:112], v[0:1], v[111:112]
	s_delay_alu instid0(VALU_DEP_2) | instskip(SKIP_1) | instid1(VALU_DEP_1)
	v_add_f64_e32 v[6:7], v[115:116], v[6:7]
	v_mul_f64_e32 v[115:116], s[18:19], v[58:59]
	v_fma_f64 v[117:118], v[50:51], s[22:23], v[115:116]
	s_delay_alu instid0(VALU_DEP_1) | instskip(SKIP_1) | instid1(VALU_DEP_1)
	v_add_f64_e32 v[4:5], v[117:118], v[4:5]
	v_mul_f64_e32 v[117:118], s[22:23], v[18:19]
	v_fma_f64 v[119:120], v[30:31], s[18:19], -v[117:118]
	s_delay_alu instid0(VALU_DEP_1) | instskip(SKIP_1) | instid1(VALU_DEP_1)
	v_add_f64_e32 v[6:7], v[119:120], v[6:7]
	v_mul_f64_e32 v[119:120], s[0:1], v[44:45]
	v_fma_f64 v[121:122], v[46:47], s[36:37], v[119:120]
	s_delay_alu instid0(VALU_DEP_1) | instskip(SKIP_1) | instid1(VALU_DEP_1)
	v_add_f64_e32 v[4:5], v[121:122], v[4:5]
	v_mul_f64_e32 v[121:122], s[36:37], v[14:15]
	v_fma_f64 v[123:124], v[20:21], s[0:1], -v[121:122]
	s_delay_alu instid0(VALU_DEP_1) | instskip(SKIP_1) | instid1(VALU_DEP_1)
	v_add_f64_e32 v[6:7], v[123:124], v[6:7]
	v_mul_f64_e32 v[123:124], s[4:5], v[8:9]
	v_fma_f64 v[125:126], v[28:29], s[24:25], v[123:124]
	s_delay_alu instid0(VALU_DEP_1) | instskip(SKIP_1) | instid1(VALU_DEP_1)
	v_add_f64_e32 v[4:5], v[125:126], v[4:5]
	v_mul_f64_e32 v[125:126], s[24:25], v[22:23]
	v_fma_f64 v[127:128], v[32:33], s[4:5], -v[125:126]
	;; [unrolled: 56-line block ×3, first 2 shown]
	s_delay_alu instid0(VALU_DEP_1) | instskip(SKIP_1) | instid1(VALU_DEP_1)
	v_add_f64_e32 v[151:152], v[151:152], v[6:7]
	v_fma_f64 v[6:7], v[34:35], s[38:39], v[153:154]
	v_add_f64_e32 v[6:7], v[6:7], v[4:5]
	v_fma_f64 v[4:5], v[24:25], s[4:5], -v[155:156]
	s_delay_alu instid0(VALU_DEP_1) | instskip(SKIP_1) | instid1(VALU_DEP_1)
	v_add_f64_e32 v[4:5], v[4:5], v[151:152]
	v_mad_co_u64_u32 v[151:152], null, s16, v157, 0
	v_mad_co_u64_u32 v[157:158], null, s17, v157, v[152:153]
	s_delay_alu instid0(VALU_DEP_1) | instskip(SKIP_1) | instid1(VALU_DEP_2)
	v_mov_b32_e32 v152, v157
	v_mul_f64_e32 v[157:158], s[6:7], v[48:49]
	v_lshlrev_b64_e32 v[151:152], 4, v[151:152]
	s_delay_alu instid0(VALU_DEP_1) | instskip(SKIP_1) | instid1(VALU_DEP_2)
	v_add_co_u32 v151, vcc_lo, v40, v151
	s_wait_alu 0xfffd
	v_add_co_ci_u32_e32 v152, vcc_lo, v41, v152, vcc_lo
	global_store_b128 v[151:152], v[4:7], off
	v_mul_f64_e32 v[151:152], s[8:9], v[42:43]
	v_fma_f64 v[6:7], v[56:57], s[34:35], v[157:158]
	s_delay_alu instid0(VALU_DEP_2) | instskip(NEXT) | instid1(VALU_DEP_1)
	v_fma_f64 v[4:5], v[54:55], s[26:27], v[151:152]
	v_add_f64_e32 v[4:5], v[2:3], v[4:5]
	s_delay_alu instid0(VALU_DEP_1) | instskip(SKIP_1) | instid1(VALU_DEP_1)
	v_add_f64_e32 v[4:5], v[6:7], v[4:5]
	v_fma_f64 v[6:7], v[16:17], s[8:9], -v[159:160]
	v_add_f64_e32 v[6:7], v[0:1], v[6:7]
	s_delay_alu instid0(VALU_DEP_1) | instskip(SKIP_1) | instid1(VALU_DEP_1)
	v_add_f64_e32 v[6:7], v[163:164], v[6:7]
	v_mul_f64_e32 v[163:164], s[4:5], v[58:59]
	v_fma_f64 v[165:166], v[50:51], s[24:25], v[163:164]
	s_delay_alu instid0(VALU_DEP_1) | instskip(SKIP_2) | instid1(VALU_DEP_2)
	v_add_f64_e32 v[4:5], v[165:166], v[4:5]
	v_mul_f64_e32 v[165:166], s[24:25], v[18:19]
	v_mul_f64_e32 v[18:19], s[26:27], v[18:19]
	v_fma_f64 v[167:168], v[30:31], s[4:5], -v[165:166]
	s_delay_alu instid0(VALU_DEP_1) | instskip(SKIP_2) | instid1(VALU_DEP_2)
	v_add_f64_e32 v[6:7], v[167:168], v[6:7]
	v_mul_f64_e32 v[167:168], s[14:15], v[44:45]
	v_mul_f64_e32 v[44:45], s[4:5], v[44:45]
	v_fma_f64 v[169:170], v[46:47], s[20:21], v[167:168]
	s_delay_alu instid0(VALU_DEP_1) | instskip(SKIP_2) | instid1(VALU_DEP_2)
	v_add_f64_e32 v[4:5], v[169:170], v[4:5]
	v_mul_f64_e32 v[169:170], s[20:21], v[14:15]
	v_mul_f64_e32 v[14:15], s[38:39], v[14:15]
	v_fma_f64 v[171:172], v[20:21], s[14:15], -v[169:170]
	s_delay_alu instid0(VALU_DEP_1) | instskip(SKIP_2) | instid1(VALU_DEP_2)
	v_add_f64_e32 v[6:7], v[171:172], v[6:7]
	v_mul_f64_e32 v[171:172], s[0:1], v[8:9]
	v_mul_f64_e32 v[8:9], s[18:19], v[8:9]
	v_fma_f64 v[173:174], v[28:29], s[36:37], v[171:172]
	s_delay_alu instid0(VALU_DEP_1) | instskip(SKIP_2) | instid1(VALU_DEP_2)
	v_add_f64_e32 v[4:5], v[173:174], v[4:5]
	v_mul_f64_e32 v[173:174], s[36:37], v[22:23]
	v_mul_f64_e32 v[22:23], s[28:29], v[22:23]
	v_fma_f64 v[175:176], v[32:33], s[0:1], -v[173:174]
	s_delay_alu instid0(VALU_DEP_1) | instskip(SKIP_1) | instid1(VALU_DEP_1)
	v_add_f64_e32 v[175:176], v[175:176], v[6:7]
	v_fma_f64 v[6:7], v[34:35], s[28:29], v[177:178]
	v_add_f64_e32 v[6:7], v[6:7], v[4:5]
	v_fma_f64 v[4:5], v[24:25], s[18:19], -v[179:180]
	s_delay_alu instid0(VALU_DEP_1) | instskip(SKIP_1) | instid1(VALU_DEP_1)
	v_add_f64_e32 v[4:5], v[4:5], v[175:176]
	v_mad_co_u64_u32 v[175:176], null, s16, v181, 0
	v_mad_co_u64_u32 v[181:182], null, s17, v181, v[176:177]
	s_delay_alu instid0(VALU_DEP_1) | instskip(NEXT) | instid1(VALU_DEP_1)
	v_mov_b32_e32 v176, v181
	v_lshlrev_b64_e32 v[175:176], 4, v[175:176]
	s_delay_alu instid0(VALU_DEP_1) | instskip(SKIP_1) | instid1(VALU_DEP_2)
	v_add_co_u32 v175, vcc_lo, v40, v175
	s_wait_alu 0xfffd
	v_add_co_ci_u32_e32 v176, vcc_lo, v41, v176, vcc_lo
	global_store_b128 v[175:176], v[4:7], off
	v_mul_f64_e32 v[4:5], s[14:15], v[42:43]
	v_fma_f64 v[42:43], v[54:55], s[12:13], v[151:152]
	v_fma_f64 v[151:152], v[16:17], s[8:9], v[159:160]
	s_delay_alu instid0(VALU_DEP_3)
	v_fma_f64 v[6:7], v[54:55], s[20:21], v[4:5]
	v_fma_f64 v[4:5], v[54:55], s[30:31], v[4:5]
	;; [unrolled: 1-line block ×3, first 2 shown]
	v_fma_f64 v[52:53], v[16:17], s[14:15], -v[52:53]
	v_fma_f64 v[16:17], v[16:17], s[0:1], v[62:63]
	v_add_f64_e32 v[62:63], v[0:1], v[151:152]
	v_add_f64_e32 v[151:152], v[2:3], v[12:13]
	v_mul_f64_e32 v[12:13], s[0:1], v[48:49]
	v_add_f64_e32 v[42:43], v[2:3], v[42:43]
	v_add_f64_e32 v[6:7], v[2:3], v[6:7]
	;; [unrolled: 1-line block ×6, first 2 shown]
	v_fma_f64 v[0:1], v[56:57], s[2:3], v[12:13]
	v_fma_f64 v[12:13], v[56:57], s[36:37], v[12:13]
	s_delay_alu instid0(VALU_DEP_2) | instskip(SKIP_2) | instid1(VALU_DEP_4)
	v_add_f64_e32 v[0:1], v[0:1], v[6:7]
	v_mul_f64_e32 v[6:7], s[36:37], v[26:27]
	v_mul_f64_e32 v[26:27], s[8:9], v[58:59]
	v_add_f64_e32 v[4:5], v[12:13], v[4:5]
	s_delay_alu instid0(VALU_DEP_3) | instskip(NEXT) | instid1(VALU_DEP_3)
	v_fma_f64 v[2:3], v[38:39], s[0:1], v[6:7]
	v_fma_f64 v[48:49], v[50:51], s[12:13], v[26:27]
	v_fma_f64 v[6:7], v[38:39], s[0:1], -v[6:7]
	v_fma_f64 v[12:13], v[50:51], s[26:27], v[26:27]
	v_fma_f64 v[26:27], v[56:57], s[38:39], v[60:61]
	v_add_f64_e32 v[2:3], v[2:3], v[54:55]
	v_add_f64_e32 v[0:1], v[48:49], v[0:1]
	v_fma_f64 v[48:49], v[30:31], s[8:9], v[18:19]
	v_add_f64_e32 v[6:7], v[6:7], v[52:53]
	v_add_f64_e32 v[4:5], v[12:13], v[4:5]
	v_fma_f64 v[12:13], v[30:31], s[8:9], -v[18:19]
	v_fma_f64 v[18:19], v[50:51], s[2:3], v[139:140]
	v_fma_f64 v[52:53], v[30:31], s[18:19], v[117:118]
	v_fma_f64 v[54:55], v[30:31], s[14:15], v[93:94]
	v_add_f64_e32 v[26:27], v[26:27], v[151:152]
	v_add_f64_e32 v[2:3], v[48:49], v[2:3]
	v_fma_f64 v[48:49], v[46:47], s[24:25], v[44:45]
	v_add_f64_e32 v[6:7], v[12:13], v[6:7]
	v_fma_f64 v[12:13], v[46:47], s[38:39], v[44:45]
	v_fma_f64 v[44:45], v[50:51], s[28:29], v[115:116]
	s_delay_alu instid0(VALU_DEP_4) | instskip(SKIP_1) | instid1(VALU_DEP_4)
	v_add_f64_e32 v[0:1], v[48:49], v[0:1]
	v_fma_f64 v[48:49], v[20:21], s[4:5], v[14:15]
	v_add_f64_e32 v[4:5], v[12:13], v[4:5]
	v_fma_f64 v[12:13], v[20:21], s[4:5], -v[14:15]
	v_fma_f64 v[14:15], v[24:25], s[18:19], v[179:180]
	s_delay_alu instid0(VALU_DEP_4) | instskip(SKIP_4) | instid1(VALU_DEP_4)
	v_add_f64_e32 v[2:3], v[48:49], v[2:3]
	v_fma_f64 v[48:49], v[28:29], s[22:23], v[8:9]
	v_fma_f64 v[8:9], v[28:29], s[28:29], v[8:9]
	v_add_f64_e32 v[6:7], v[12:13], v[6:7]
	v_fma_f64 v[12:13], v[50:51], s[38:39], v[163:164]
	v_add_f64_e32 v[0:1], v[48:49], v[0:1]
	v_fma_f64 v[48:49], v[32:33], s[18:19], v[22:23]
	v_add_f64_e32 v[4:5], v[8:9], v[4:5]
	v_fma_f64 v[8:9], v[32:33], s[18:19], -v[22:23]
	v_fma_f64 v[22:23], v[24:25], s[4:5], v[155:156]
	s_delay_alu instid0(VALU_DEP_4) | instskip(SKIP_1) | instid1(VALU_DEP_4)
	v_add_f64_e32 v[48:49], v[48:49], v[2:3]
	v_fma_f64 v[2:3], v[34:35], s[10:11], v[36:37]
	v_add_f64_e32 v[8:9], v[8:9], v[6:7]
	v_fma_f64 v[6:7], v[34:35], s[34:35], v[36:37]
	v_fma_f64 v[36:37], v[38:39], s[14:15], v[113:114]
	s_delay_alu instid0(VALU_DEP_4) | instskip(SKIP_4) | instid1(VALU_DEP_4)
	v_add_f64_e32 v[2:3], v[2:3], v[0:1]
	v_fma_f64 v[0:1], v[24:25], s[6:7], v[10:11]
	v_fma_f64 v[10:11], v[24:25], s[6:7], -v[10:11]
	v_add_f64_e32 v[6:7], v[6:7], v[4:5]
	v_add_f64_e32 v[36:37], v[36:37], v[111:112]
	;; [unrolled: 1-line block ×3, first 2 shown]
	s_delay_alu instid0(VALU_DEP_4)
	v_add_f64_e32 v[4:5], v[10:11], v[8:9]
	v_fma_f64 v[8:9], v[56:57], s[10:11], v[157:158]
	v_fma_f64 v[10:11], v[38:39], s[6:7], v[161:162]
	;; [unrolled: 1-line block ×4, first 2 shown]
	v_add_f64_e32 v[36:37], v[52:53], v[36:37]
	v_add_f64_e32 v[8:9], v[8:9], v[42:43]
	;; [unrolled: 1-line block ×3, first 2 shown]
	v_fma_f64 v[42:43], v[38:39], s[18:19], v[89:90]
	v_add_f64_e32 v[26:27], v[50:51], v[26:27]
	v_fma_f64 v[50:51], v[28:29], s[10:11], v[99:100]
	v_add_f64_e32 v[8:9], v[12:13], v[8:9]
	;; [unrolled: 2-line block ×3, first 2 shown]
	s_delay_alu instid0(VALU_DEP_2) | instskip(SKIP_1) | instid1(VALU_DEP_3)
	v_add_f64_e32 v[10:11], v[12:13], v[10:11]
	v_fma_f64 v[12:13], v[46:47], s[30:31], v[167:168]
	v_add_f64_e32 v[42:43], v[54:55], v[42:43]
	s_delay_alu instid0(VALU_DEP_2) | instskip(SKIP_1) | instid1(VALU_DEP_1)
	v_add_f64_e32 v[8:9], v[12:13], v[8:9]
	v_fma_f64 v[12:13], v[20:21], s[14:15], v[169:170]
	v_add_f64_e32 v[10:11], v[12:13], v[10:11]
	v_fma_f64 v[12:13], v[28:29], s[2:3], v[171:172]
	s_delay_alu instid0(VALU_DEP_1) | instskip(SKIP_1) | instid1(VALU_DEP_1)
	v_add_f64_e32 v[8:9], v[12:13], v[8:9]
	v_fma_f64 v[12:13], v[32:33], s[0:1], v[173:174]
	v_add_f64_e32 v[12:13], v[12:13], v[10:11]
	v_fma_f64 v[10:11], v[34:35], s[22:23], v[177:178]
	s_delay_alu instid0(VALU_DEP_1) | instskip(NEXT) | instid1(VALU_DEP_3)
	v_add_f64_e32 v[10:11], v[10:11], v[8:9]
	v_add_f64_e32 v[8:9], v[14:15], v[12:13]
	v_fma_f64 v[12:13], v[56:57], s[26:27], v[133:134]
	v_fma_f64 v[14:15], v[38:39], s[8:9], v[137:138]
	;; [unrolled: 1-line block ×3, first 2 shown]
	s_delay_alu instid0(VALU_DEP_3) | instskip(NEXT) | instid1(VALU_DEP_3)
	v_add_f64_e32 v[12:13], v[12:13], v[127:128]
	v_add_f64_e32 v[14:15], v[14:15], v[135:136]
	s_delay_alu instid0(VALU_DEP_3) | instskip(SKIP_1) | instid1(VALU_DEP_4)
	v_add_f64_e32 v[16:17], v[38:39], v[16:17]
	v_fma_f64 v[38:39], v[46:47], s[2:3], v[119:120]
	v_add_f64_e32 v[12:13], v[18:19], v[12:13]
	v_fma_f64 v[18:19], v[30:31], s[0:1], v[141:142]
	v_fma_f64 v[30:31], v[30:31], s[6:7], v[69:70]
	s_delay_alu instid0(VALU_DEP_2) | instskip(SKIP_1) | instid1(VALU_DEP_3)
	v_add_f64_e32 v[14:15], v[18:19], v[14:15]
	v_fma_f64 v[18:19], v[46:47], s[34:35], v[143:144]
	v_add_f64_e32 v[16:17], v[30:31], v[16:17]
	v_fma_f64 v[30:31], v[28:29], s[38:39], v[123:124]
	s_delay_alu instid0(VALU_DEP_3) | instskip(SKIP_1) | instid1(VALU_DEP_1)
	v_add_f64_e32 v[12:13], v[18:19], v[12:13]
	v_fma_f64 v[18:19], v[20:21], s[6:7], v[145:146]
	v_add_f64_e32 v[14:15], v[18:19], v[14:15]
	v_fma_f64 v[18:19], v[28:29], s[30:31], v[147:148]
	v_fma_f64 v[28:29], v[28:29], s[12:13], v[75:76]
	s_delay_alu instid0(VALU_DEP_2) | instskip(SKIP_1) | instid1(VALU_DEP_1)
	v_add_f64_e32 v[12:13], v[18:19], v[12:13]
	v_fma_f64 v[18:19], v[32:33], s[14:15], v[149:150]
	v_add_f64_e32 v[18:19], v[18:19], v[14:15]
	v_fma_f64 v[14:15], v[34:35], s[24:25], v[153:154]
	s_delay_alu instid0(VALU_DEP_1) | instskip(NEXT) | instid1(VALU_DEP_3)
	v_add_f64_e32 v[14:15], v[14:15], v[12:13]
	v_add_f64_e32 v[12:13], v[22:23], v[18:19]
	v_fma_f64 v[18:19], v[56:57], s[20:21], v[109:110]
	v_fma_f64 v[22:23], v[56:57], s[22:23], v[85:86]
	;; [unrolled: 1-line block ×4, first 2 shown]
	s_delay_alu instid0(VALU_DEP_4) | instskip(NEXT) | instid1(VALU_DEP_4)
	v_add_f64_e32 v[18:19], v[18:19], v[103:104]
	v_add_f64_e32 v[22:23], v[22:23], v[79:80]
	s_delay_alu instid0(VALU_DEP_3) | instskip(SKIP_1) | instid1(VALU_DEP_4)
	v_add_f64_e32 v[26:27], v[46:47], v[26:27]
	v_fma_f64 v[46:47], v[34:35], s[2:3], v[105:106]
	v_add_f64_e32 v[18:19], v[44:45], v[18:19]
	s_delay_alu instid0(VALU_DEP_4)
	v_add_f64_e32 v[22:23], v[48:49], v[22:23]
	v_fma_f64 v[44:45], v[20:21], s[0:1], v[121:122]
	v_fma_f64 v[48:49], v[20:21], s[8:9], v[97:98]
	;; [unrolled: 1-line block ×3, first 2 shown]
	v_add_f64_e32 v[26:27], v[28:29], v[26:27]
	v_add_f64_e32 v[18:19], v[38:39], v[18:19]
	;; [unrolled: 1-line block ×5, first 2 shown]
	v_fma_f64 v[42:43], v[32:33], s[4:5], v[125:126]
	v_fma_f64 v[44:45], v[32:33], s[6:7], v[101:102]
	;; [unrolled: 1-line block ×3, first 2 shown]
	v_add_f64_e32 v[16:17], v[20:21], v[16:17]
	v_fma_f64 v[20:21], v[34:35], s[12:13], v[129:130]
	v_fma_f64 v[34:35], v[34:35], s[20:21], v[81:82]
	v_add_f64_e32 v[18:19], v[30:31], v[18:19]
	v_add_f64_e32 v[22:23], v[50:51], v[22:23]
	;; [unrolled: 1-line block ×4, first 2 shown]
	v_fma_f64 v[38:39], v[24:25], s[8:9], v[131:132]
	v_fma_f64 v[42:43], v[24:25], s[0:1], v[107:108]
	;; [unrolled: 1-line block ×3, first 2 shown]
	v_add_f64_e32 v[28:29], v[32:33], v[16:17]
	v_add_f64_e32 v[26:27], v[34:35], v[26:27]
	;; [unrolled: 1-line block ×5, first 2 shown]
	v_add_nc_u32_e32 v39, 0x320, v68
	v_add_f64_e32 v[20:21], v[42:43], v[36:37]
	v_add_f64_e32 v[24:25], v[24:25], v[28:29]
	v_add_nc_u32_e32 v42, 0x44c, v68
	s_delay_alu instid0(VALU_DEP_4) | instskip(SKIP_1) | instid1(VALU_DEP_1)
	v_mad_co_u64_u32 v[36:37], null, s16, v39, 0
	v_add_nc_u32_e32 v38, 0x2bc, v68
	v_mad_co_u64_u32 v[32:33], null, s16, v38, 0
	s_delay_alu instid0(VALU_DEP_1) | instskip(NEXT) | instid1(VALU_DEP_1)
	v_dual_mov_b32 v29, v33 :: v_dual_add_nc_u32 v44, 0x258, v68
	v_mad_co_u64_u32 v[30:31], null, s16, v44, 0
	s_delay_alu instid0(VALU_DEP_1) | instskip(NEXT) | instid1(VALU_DEP_1)
	v_mov_b32_e32 v28, v31
	v_mad_co_u64_u32 v[33:34], null, s17, v44, v[28:29]
	s_delay_alu instid0(VALU_DEP_3) | instskip(SKIP_1) | instid1(VALU_DEP_3)
	v_mad_co_u64_u32 v[28:29], null, s17, v38, v[29:30]
	v_dual_mov_b32 v29, v37 :: v_dual_add_nc_u32 v44, 0x4b0, v68
	v_mov_b32_e32 v31, v33
	s_delay_alu instid0(VALU_DEP_2) | instskip(SKIP_2) | instid1(VALU_DEP_2)
	v_mad_co_u64_u32 v[34:35], null, s17, v39, v[29:30]
	v_add_nc_u32_e32 v29, 0x384, v68
	v_mov_b32_e32 v33, v28
	v_mad_co_u64_u32 v[38:39], null, s16, v29, 0
	s_delay_alu instid0(VALU_DEP_4) | instskip(NEXT) | instid1(VALU_DEP_3)
	v_mov_b32_e32 v37, v34
	v_lshlrev_b64_e32 v[32:33], 4, v[32:33]
	s_delay_alu instid0(VALU_DEP_2) | instskip(NEXT) | instid1(VALU_DEP_4)
	v_lshlrev_b64_e32 v[36:37], 4, v[36:37]
	v_mov_b32_e32 v28, v39
	s_delay_alu instid0(VALU_DEP_1) | instskip(SKIP_1) | instid1(VALU_DEP_1)
	v_mad_co_u64_u32 v[28:29], null, s17, v29, v[28:29]
	v_add_nc_u32_e32 v29, 0x3e8, v68
	v_mad_co_u64_u32 v[34:35], null, s16, v29, 0
	s_delay_alu instid0(VALU_DEP_3) | instskip(NEXT) | instid1(VALU_DEP_1)
	v_mov_b32_e32 v39, v28
	v_lshlrev_b64_e32 v[38:39], 4, v[38:39]
	s_delay_alu instid0(VALU_DEP_3) | instskip(NEXT) | instid1(VALU_DEP_1)
	v_mov_b32_e32 v28, v35
	v_mad_co_u64_u32 v[28:29], null, s17, v29, v[28:29]
	s_delay_alu instid0(VALU_DEP_1) | instskip(SKIP_1) | instid1(VALU_DEP_2)
	v_mov_b32_e32 v35, v28
	v_mad_co_u64_u32 v[28:29], null, s16, v42, 0
	v_lshlrev_b64_e32 v[34:35], 4, v[34:35]
	s_delay_alu instid0(VALU_DEP_2) | instskip(SKIP_1) | instid1(VALU_DEP_2)
	v_mad_co_u64_u32 v[42:43], null, s17, v42, v[29:30]
	v_lshlrev_b64_e32 v[30:31], 4, v[30:31]
	v_mov_b32_e32 v29, v42
	v_mad_co_u64_u32 v[42:43], null, s16, v44, 0
	s_delay_alu instid0(VALU_DEP_3) | instskip(SKIP_1) | instid1(VALU_DEP_4)
	v_add_co_u32 v30, vcc_lo, v40, v30
	s_wait_alu 0xfffd
	v_add_co_ci_u32_e32 v31, vcc_lo, v41, v31, vcc_lo
	v_add_co_u32 v32, vcc_lo, v40, v32
	s_delay_alu instid0(VALU_DEP_4)
	v_mad_co_u64_u32 v[43:44], null, s17, v44, v[43:44]
	s_wait_alu 0xfffd
	v_add_co_ci_u32_e32 v33, vcc_lo, v41, v33, vcc_lo
	v_add_co_u32 v36, vcc_lo, v40, v36
	s_wait_alu 0xfffd
	v_add_co_ci_u32_e32 v37, vcc_lo, v41, v37, vcc_lo
	v_add_co_u32 v38, vcc_lo, v40, v38
	v_lshlrev_b64_e32 v[28:29], 4, v[28:29]
	s_wait_alu 0xfffd
	v_add_co_ci_u32_e32 v39, vcc_lo, v41, v39, vcc_lo
	v_add_co_u32 v34, vcc_lo, v40, v34
	v_lshlrev_b64_e32 v[42:43], 4, v[42:43]
	s_wait_alu 0xfffd
	v_add_co_ci_u32_e32 v35, vcc_lo, v41, v35, vcc_lo
	v_add_co_u32 v28, vcc_lo, v40, v28
	s_wait_alu 0xfffd
	v_add_co_ci_u32_e32 v29, vcc_lo, v41, v29, vcc_lo
	v_add_co_u32 v40, vcc_lo, v40, v42
	s_wait_alu 0xfffd
	v_add_co_ci_u32_e32 v41, vcc_lo, v41, v43, vcc_lo
	s_clause 0x6
	global_store_b128 v[30:31], v[4:7], off
	global_store_b128 v[32:33], v[0:3], off
	;; [unrolled: 1-line block ×7, first 2 shown]
.LBB0_17:
	s_nop 0
	s_sendmsg sendmsg(MSG_DEALLOC_VGPRS)
	s_endpgm
	.section	.rodata,"a",@progbits
	.p2align	6, 0x0
	.amdhsa_kernel fft_rtc_fwd_len1300_factors_10_10_13_wgs_130_tpt_130_dp_op_CI_CI_sbrr_dirReg
		.amdhsa_group_segment_fixed_size 0
		.amdhsa_private_segment_fixed_size 0
		.amdhsa_kernarg_size 104
		.amdhsa_user_sgpr_count 2
		.amdhsa_user_sgpr_dispatch_ptr 0
		.amdhsa_user_sgpr_queue_ptr 0
		.amdhsa_user_sgpr_kernarg_segment_ptr 1
		.amdhsa_user_sgpr_dispatch_id 0
		.amdhsa_user_sgpr_private_segment_size 0
		.amdhsa_wavefront_size32 1
		.amdhsa_uses_dynamic_stack 0
		.amdhsa_enable_private_segment 0
		.amdhsa_system_sgpr_workgroup_id_x 1
		.amdhsa_system_sgpr_workgroup_id_y 0
		.amdhsa_system_sgpr_workgroup_id_z 0
		.amdhsa_system_sgpr_workgroup_info 0
		.amdhsa_system_vgpr_workitem_id 0
		.amdhsa_next_free_vgpr 183
		.amdhsa_next_free_sgpr 43
		.amdhsa_reserve_vcc 1
		.amdhsa_float_round_mode_32 0
		.amdhsa_float_round_mode_16_64 0
		.amdhsa_float_denorm_mode_32 3
		.amdhsa_float_denorm_mode_16_64 3
		.amdhsa_fp16_overflow 0
		.amdhsa_workgroup_processor_mode 1
		.amdhsa_memory_ordered 1
		.amdhsa_forward_progress 0
		.amdhsa_round_robin_scheduling 0
		.amdhsa_exception_fp_ieee_invalid_op 0
		.amdhsa_exception_fp_denorm_src 0
		.amdhsa_exception_fp_ieee_div_zero 0
		.amdhsa_exception_fp_ieee_overflow 0
		.amdhsa_exception_fp_ieee_underflow 0
		.amdhsa_exception_fp_ieee_inexact 0
		.amdhsa_exception_int_div_zero 0
	.end_amdhsa_kernel
	.text
.Lfunc_end0:
	.size	fft_rtc_fwd_len1300_factors_10_10_13_wgs_130_tpt_130_dp_op_CI_CI_sbrr_dirReg, .Lfunc_end0-fft_rtc_fwd_len1300_factors_10_10_13_wgs_130_tpt_130_dp_op_CI_CI_sbrr_dirReg
                                        ; -- End function
	.section	.AMDGPU.csdata,"",@progbits
; Kernel info:
; codeLenInByte = 9688
; NumSgprs: 45
; NumVgprs: 183
; ScratchSize: 0
; MemoryBound: 1
; FloatMode: 240
; IeeeMode: 1
; LDSByteSize: 0 bytes/workgroup (compile time only)
; SGPRBlocks: 5
; VGPRBlocks: 22
; NumSGPRsForWavesPerEU: 45
; NumVGPRsForWavesPerEU: 183
; Occupancy: 8
; WaveLimiterHint : 1
; COMPUTE_PGM_RSRC2:SCRATCH_EN: 0
; COMPUTE_PGM_RSRC2:USER_SGPR: 2
; COMPUTE_PGM_RSRC2:TRAP_HANDLER: 0
; COMPUTE_PGM_RSRC2:TGID_X_EN: 1
; COMPUTE_PGM_RSRC2:TGID_Y_EN: 0
; COMPUTE_PGM_RSRC2:TGID_Z_EN: 0
; COMPUTE_PGM_RSRC2:TIDIG_COMP_CNT: 0
	.text
	.p2alignl 7, 3214868480
	.fill 96, 4, 3214868480
	.type	__hip_cuid_d76bd42887439db2,@object ; @__hip_cuid_d76bd42887439db2
	.section	.bss,"aw",@nobits
	.globl	__hip_cuid_d76bd42887439db2
__hip_cuid_d76bd42887439db2:
	.byte	0                               ; 0x0
	.size	__hip_cuid_d76bd42887439db2, 1

	.ident	"AMD clang version 19.0.0git (https://github.com/RadeonOpenCompute/llvm-project roc-6.4.0 25133 c7fe45cf4b819c5991fe208aaa96edf142730f1d)"
	.section	".note.GNU-stack","",@progbits
	.addrsig
	.addrsig_sym __hip_cuid_d76bd42887439db2
	.amdgpu_metadata
---
amdhsa.kernels:
  - .args:
      - .actual_access:  read_only
        .address_space:  global
        .offset:         0
        .size:           8
        .value_kind:     global_buffer
      - .offset:         8
        .size:           8
        .value_kind:     by_value
      - .actual_access:  read_only
        .address_space:  global
        .offset:         16
        .size:           8
        .value_kind:     global_buffer
      - .actual_access:  read_only
        .address_space:  global
        .offset:         24
        .size:           8
        .value_kind:     global_buffer
      - .actual_access:  read_only
        .address_space:  global
        .offset:         32
        .size:           8
        .value_kind:     global_buffer
      - .offset:         40
        .size:           8
        .value_kind:     by_value
      - .actual_access:  read_only
        .address_space:  global
        .offset:         48
        .size:           8
        .value_kind:     global_buffer
      - .actual_access:  read_only
        .address_space:  global
        .offset:         56
        .size:           8
        .value_kind:     global_buffer
      - .offset:         64
        .size:           4
        .value_kind:     by_value
      - .actual_access:  read_only
        .address_space:  global
        .offset:         72
        .size:           8
        .value_kind:     global_buffer
      - .actual_access:  read_only
        .address_space:  global
        .offset:         80
        .size:           8
        .value_kind:     global_buffer
      - .actual_access:  read_only
        .address_space:  global
        .offset:         88
        .size:           8
        .value_kind:     global_buffer
      - .actual_access:  write_only
        .address_space:  global
        .offset:         96
        .size:           8
        .value_kind:     global_buffer
    .group_segment_fixed_size: 0
    .kernarg_segment_align: 8
    .kernarg_segment_size: 104
    .language:       OpenCL C
    .language_version:
      - 2
      - 0
    .max_flat_workgroup_size: 130
    .name:           fft_rtc_fwd_len1300_factors_10_10_13_wgs_130_tpt_130_dp_op_CI_CI_sbrr_dirReg
    .private_segment_fixed_size: 0
    .sgpr_count:     45
    .sgpr_spill_count: 0
    .symbol:         fft_rtc_fwd_len1300_factors_10_10_13_wgs_130_tpt_130_dp_op_CI_CI_sbrr_dirReg.kd
    .uniform_work_group_size: 1
    .uses_dynamic_stack: false
    .vgpr_count:     183
    .vgpr_spill_count: 0
    .wavefront_size: 32
    .workgroup_processor_mode: 1
amdhsa.target:   amdgcn-amd-amdhsa--gfx1201
amdhsa.version:
  - 1
  - 2
...

	.end_amdgpu_metadata
